;; amdgpu-corpus repo=ROCm/rocFFT kind=compiled arch=gfx906 opt=O3
	.text
	.amdgcn_target "amdgcn-amd-amdhsa--gfx906"
	.amdhsa_code_object_version 6
	.protected	fft_rtc_fwd_len1694_factors_11_2_11_7_wgs_154_tpt_154_halfLds_half_op_CI_CI_sbrr_dirReg ; -- Begin function fft_rtc_fwd_len1694_factors_11_2_11_7_wgs_154_tpt_154_halfLds_half_op_CI_CI_sbrr_dirReg
	.globl	fft_rtc_fwd_len1694_factors_11_2_11_7_wgs_154_tpt_154_halfLds_half_op_CI_CI_sbrr_dirReg
	.p2align	8
	.type	fft_rtc_fwd_len1694_factors_11_2_11_7_wgs_154_tpt_154_halfLds_half_op_CI_CI_sbrr_dirReg,@function
fft_rtc_fwd_len1694_factors_11_2_11_7_wgs_154_tpt_154_halfLds_half_op_CI_CI_sbrr_dirReg: ; @fft_rtc_fwd_len1694_factors_11_2_11_7_wgs_154_tpt_154_halfLds_half_op_CI_CI_sbrr_dirReg
; %bb.0:
	s_load_dwordx4 s[16:19], s[4:5], 0x18
	s_load_dwordx4 s[8:11], s[4:5], 0x0
	;; [unrolled: 1-line block ×3, first 2 shown]
	v_mul_u32_u24_e32 v1, 0x1aa, v0
	v_mov_b32_e32 v7, 0
	s_waitcnt lgkmcnt(0)
	s_load_dwordx2 s[20:21], s[16:17], 0x0
	s_load_dwordx2 s[2:3], s[18:19], 0x0
	v_cmp_lt_u64_e64 s[0:1], s[10:11], 2
	v_mov_b32_e32 v5, 0
	v_add_u32_sdwa v9, s6, v1 dst_sel:DWORD dst_unused:UNUSED_PAD src0_sel:DWORD src1_sel:WORD_1
	v_mov_b32_e32 v10, v7
	s_and_b64 vcc, exec, s[0:1]
	v_mov_b32_e32 v6, 0
	s_cbranch_vccnz .LBB0_8
; %bb.1:
	s_load_dwordx2 s[0:1], s[4:5], 0x10
	s_add_u32 s6, s18, 8
	s_addc_u32 s7, s19, 0
	s_add_u32 s22, s16, 8
	s_addc_u32 s23, s17, 0
	v_mov_b32_e32 v5, 0
	s_waitcnt lgkmcnt(0)
	s_add_u32 s24, s0, 8
	v_mov_b32_e32 v6, 0
	v_mov_b32_e32 v1, v5
	s_addc_u32 s25, s1, 0
	s_mov_b64 s[26:27], 1
	v_mov_b32_e32 v2, v6
.LBB0_2:                                ; =>This Inner Loop Header: Depth=1
	s_load_dwordx2 s[28:29], s[24:25], 0x0
                                        ; implicit-def: $vgpr3_vgpr4
	s_waitcnt lgkmcnt(0)
	v_or_b32_e32 v8, s29, v10
	v_cmp_ne_u64_e32 vcc, 0, v[7:8]
	s_and_saveexec_b64 s[0:1], vcc
	s_xor_b64 s[30:31], exec, s[0:1]
	s_cbranch_execz .LBB0_4
; %bb.3:                                ;   in Loop: Header=BB0_2 Depth=1
	v_cvt_f32_u32_e32 v3, s28
	v_cvt_f32_u32_e32 v4, s29
	s_sub_u32 s0, 0, s28
	s_subb_u32 s1, 0, s29
	v_mac_f32_e32 v3, 0x4f800000, v4
	v_rcp_f32_e32 v3, v3
	v_mul_f32_e32 v3, 0x5f7ffffc, v3
	v_mul_f32_e32 v4, 0x2f800000, v3
	v_trunc_f32_e32 v4, v4
	v_mac_f32_e32 v3, 0xcf800000, v4
	v_cvt_u32_f32_e32 v4, v4
	v_cvt_u32_f32_e32 v3, v3
	v_mul_lo_u32 v8, s0, v4
	v_mul_hi_u32 v11, s0, v3
	v_mul_lo_u32 v13, s1, v3
	v_mul_lo_u32 v12, s0, v3
	v_add_u32_e32 v8, v11, v8
	v_add_u32_e32 v8, v8, v13
	v_mul_hi_u32 v11, v3, v12
	v_mul_lo_u32 v13, v3, v8
	v_mul_hi_u32 v15, v3, v8
	v_mul_hi_u32 v14, v4, v12
	v_mul_lo_u32 v12, v4, v12
	v_mul_hi_u32 v16, v4, v8
	v_add_co_u32_e32 v11, vcc, v11, v13
	v_addc_co_u32_e32 v13, vcc, 0, v15, vcc
	v_mul_lo_u32 v8, v4, v8
	v_add_co_u32_e32 v11, vcc, v11, v12
	v_addc_co_u32_e32 v11, vcc, v13, v14, vcc
	v_addc_co_u32_e32 v12, vcc, 0, v16, vcc
	v_add_co_u32_e32 v8, vcc, v11, v8
	v_addc_co_u32_e32 v11, vcc, 0, v12, vcc
	v_add_co_u32_e32 v3, vcc, v3, v8
	v_addc_co_u32_e32 v4, vcc, v4, v11, vcc
	v_mul_lo_u32 v8, s0, v4
	v_mul_hi_u32 v11, s0, v3
	v_mul_lo_u32 v12, s1, v3
	v_mul_lo_u32 v13, s0, v3
	v_add_u32_e32 v8, v11, v8
	v_add_u32_e32 v8, v8, v12
	v_mul_lo_u32 v14, v3, v8
	v_mul_hi_u32 v15, v3, v13
	v_mul_hi_u32 v16, v3, v8
	;; [unrolled: 1-line block ×3, first 2 shown]
	v_mul_lo_u32 v13, v4, v13
	v_mul_hi_u32 v11, v4, v8
	v_add_co_u32_e32 v14, vcc, v15, v14
	v_addc_co_u32_e32 v15, vcc, 0, v16, vcc
	v_mul_lo_u32 v8, v4, v8
	v_add_co_u32_e32 v13, vcc, v14, v13
	v_addc_co_u32_e32 v12, vcc, v15, v12, vcc
	v_addc_co_u32_e32 v11, vcc, 0, v11, vcc
	v_add_co_u32_e32 v8, vcc, v12, v8
	v_addc_co_u32_e32 v11, vcc, 0, v11, vcc
	v_add_co_u32_e32 v8, vcc, v3, v8
	v_addc_co_u32_e32 v11, vcc, v4, v11, vcc
	v_mad_u64_u32 v[3:4], s[0:1], v9, v11, 0
	v_mul_hi_u32 v12, v9, v8
	v_add_co_u32_e32 v13, vcc, v12, v3
	v_addc_co_u32_e32 v14, vcc, 0, v4, vcc
	v_mad_u64_u32 v[3:4], s[0:1], v10, v8, 0
	v_mad_u64_u32 v[11:12], s[0:1], v10, v11, 0
	v_add_co_u32_e32 v3, vcc, v13, v3
	v_addc_co_u32_e32 v3, vcc, v14, v4, vcc
	v_addc_co_u32_e32 v4, vcc, 0, v12, vcc
	v_add_co_u32_e32 v8, vcc, v3, v11
	v_addc_co_u32_e32 v11, vcc, 0, v4, vcc
	v_mul_lo_u32 v12, s29, v8
	v_mul_lo_u32 v13, s28, v11
	v_mad_u64_u32 v[3:4], s[0:1], s28, v8, 0
	v_add3_u32 v4, v4, v13, v12
	v_sub_u32_e32 v12, v10, v4
	v_mov_b32_e32 v13, s29
	v_sub_co_u32_e32 v3, vcc, v9, v3
	v_subb_co_u32_e64 v12, s[0:1], v12, v13, vcc
	v_subrev_co_u32_e64 v13, s[0:1], s28, v3
	v_subbrev_co_u32_e64 v12, s[0:1], 0, v12, s[0:1]
	v_cmp_le_u32_e64 s[0:1], s29, v12
	v_cndmask_b32_e64 v14, 0, -1, s[0:1]
	v_cmp_le_u32_e64 s[0:1], s28, v13
	v_cndmask_b32_e64 v13, 0, -1, s[0:1]
	v_cmp_eq_u32_e64 s[0:1], s29, v12
	v_cndmask_b32_e64 v12, v14, v13, s[0:1]
	v_add_co_u32_e64 v13, s[0:1], 2, v8
	v_addc_co_u32_e64 v14, s[0:1], 0, v11, s[0:1]
	v_add_co_u32_e64 v15, s[0:1], 1, v8
	v_addc_co_u32_e64 v16, s[0:1], 0, v11, s[0:1]
	v_subb_co_u32_e32 v4, vcc, v10, v4, vcc
	v_cmp_ne_u32_e64 s[0:1], 0, v12
	v_cmp_le_u32_e32 vcc, s29, v4
	v_cndmask_b32_e64 v12, v16, v14, s[0:1]
	v_cndmask_b32_e64 v14, 0, -1, vcc
	v_cmp_le_u32_e32 vcc, s28, v3
	v_cndmask_b32_e64 v3, 0, -1, vcc
	v_cmp_eq_u32_e32 vcc, s29, v4
	v_cndmask_b32_e32 v3, v14, v3, vcc
	v_cmp_ne_u32_e32 vcc, 0, v3
	v_cndmask_b32_e64 v3, v15, v13, s[0:1]
	v_cndmask_b32_e32 v4, v11, v12, vcc
	v_cndmask_b32_e32 v3, v8, v3, vcc
.LBB0_4:                                ;   in Loop: Header=BB0_2 Depth=1
	s_andn2_saveexec_b64 s[0:1], s[30:31]
	s_cbranch_execz .LBB0_6
; %bb.5:                                ;   in Loop: Header=BB0_2 Depth=1
	v_cvt_f32_u32_e32 v3, s28
	s_sub_i32 s30, 0, s28
	v_rcp_iflag_f32_e32 v3, v3
	v_mul_f32_e32 v3, 0x4f7ffffe, v3
	v_cvt_u32_f32_e32 v3, v3
	v_mul_lo_u32 v4, s30, v3
	v_mul_hi_u32 v4, v3, v4
	v_add_u32_e32 v3, v3, v4
	v_mul_hi_u32 v3, v9, v3
	v_mul_lo_u32 v4, v3, s28
	v_add_u32_e32 v8, 1, v3
	v_sub_u32_e32 v4, v9, v4
	v_subrev_u32_e32 v11, s28, v4
	v_cmp_le_u32_e32 vcc, s28, v4
	v_cndmask_b32_e32 v4, v4, v11, vcc
	v_cndmask_b32_e32 v3, v3, v8, vcc
	v_add_u32_e32 v8, 1, v3
	v_cmp_le_u32_e32 vcc, s28, v4
	v_cndmask_b32_e32 v3, v3, v8, vcc
	v_mov_b32_e32 v4, v7
.LBB0_6:                                ;   in Loop: Header=BB0_2 Depth=1
	s_or_b64 exec, exec, s[0:1]
	v_mul_lo_u32 v8, v4, s28
	v_mul_lo_u32 v13, v3, s29
	v_mad_u64_u32 v[11:12], s[0:1], v3, s28, 0
	s_load_dwordx2 s[0:1], s[22:23], 0x0
	s_load_dwordx2 s[28:29], s[6:7], 0x0
	v_add3_u32 v8, v12, v13, v8
	v_sub_co_u32_e32 v9, vcc, v9, v11
	v_subb_co_u32_e32 v8, vcc, v10, v8, vcc
	s_waitcnt lgkmcnt(0)
	v_mul_lo_u32 v10, s0, v8
	v_mul_lo_u32 v11, s1, v9
	v_mad_u64_u32 v[5:6], s[0:1], s0, v9, v[5:6]
	v_mul_lo_u32 v8, s28, v8
	v_mul_lo_u32 v12, s29, v9
	v_mad_u64_u32 v[1:2], s[0:1], s28, v9, v[1:2]
	s_add_u32 s26, s26, 1
	s_addc_u32 s27, s27, 0
	s_add_u32 s6, s6, 8
	v_add3_u32 v2, v12, v2, v8
	s_addc_u32 s7, s7, 0
	v_mov_b32_e32 v8, s10
	s_add_u32 s22, s22, 8
	v_mov_b32_e32 v9, s11
	s_addc_u32 s23, s23, 0
	v_cmp_ge_u64_e32 vcc, s[26:27], v[8:9]
	s_add_u32 s24, s24, 8
	v_add3_u32 v6, v11, v6, v10
	s_addc_u32 s25, s25, 0
	s_cbranch_vccnz .LBB0_9
; %bb.7:                                ;   in Loop: Header=BB0_2 Depth=1
	v_mov_b32_e32 v10, v4
	v_mov_b32_e32 v9, v3
	s_branch .LBB0_2
.LBB0_8:
	v_mov_b32_e32 v1, v5
	v_mov_b32_e32 v3, v9
	;; [unrolled: 1-line block ×4, first 2 shown]
.LBB0_9:
	s_load_dwordx2 s[0:1], s[4:5], 0x28
	s_lshl_b64 s[10:11], s[10:11], 3
	s_add_u32 s4, s18, s10
	s_addc_u32 s5, s19, s11
                                        ; implicit-def: $sgpr18
                                        ; implicit-def: $vgpr7
                                        ; implicit-def: $vgpr8
                                        ; implicit-def: $vgpr10
                                        ; implicit-def: $vgpr11
                                        ; implicit-def: $vgpr12
                                        ; implicit-def: $vgpr13
	s_waitcnt lgkmcnt(0)
	v_cmp_gt_u64_e32 vcc, s[0:1], v[3:4]
	v_cmp_le_u64_e64 s[0:1], s[0:1], v[3:4]
	s_and_saveexec_b64 s[6:7], s[0:1]
	s_xor_b64 s[0:1], exec, s[6:7]
; %bb.10:
	s_mov_b32 s6, 0x1a98ef7
	v_mul_hi_u32 v5, v0, s6
	s_mov_b32 s18, 0
	v_mul_u32_u24_e32 v5, 0x9a, v5
	v_sub_u32_e32 v7, v0, v5
	v_add_u32_e32 v8, 0x9a, v7
	v_add_u32_e32 v10, 0x134, v7
	;; [unrolled: 1-line block ×5, first 2 shown]
                                        ; implicit-def: $vgpr0
                                        ; implicit-def: $vgpr5_vgpr6
; %bb.11:
	s_or_saveexec_b64 s[6:7], s[0:1]
	v_mov_b32_e32 v18, s18
                                        ; implicit-def: $vgpr37
                                        ; implicit-def: $vgpr24
                                        ; implicit-def: $vgpr36
                                        ; implicit-def: $vgpr23
                                        ; implicit-def: $vgpr35
                                        ; implicit-def: $vgpr22
                                        ; implicit-def: $vgpr32
                                        ; implicit-def: $vgpr20
                                        ; implicit-def: $vgpr31
                                        ; implicit-def: $vgpr19
                                        ; implicit-def: $vgpr33
                                        ; implicit-def: $vgpr21
                                        ; implicit-def: $vgpr38
                                        ; implicit-def: $vgpr25
                                        ; implicit-def: $vgpr41
                                        ; implicit-def: $vgpr34
                                        ; implicit-def: $vgpr43
                                        ; implicit-def: $vgpr39
                                        ; implicit-def: $vgpr44
                                        ; implicit-def: $vgpr42
	s_xor_b64 exec, exec, s[6:7]
	s_cbranch_execz .LBB0_13
; %bb.12:
	s_add_u32 s0, s16, s10
	s_mov_b32 s10, 0x1a98ef7
	v_mul_hi_u32 v7, v0, s10
	s_addc_u32 s1, s17, s11
	s_load_dwordx2 s[0:1], s[0:1], 0x0
	v_lshlrev_b64 v[5:6], 2, v[5:6]
	v_mul_u32_u24_e32 v7, 0x9a, v7
	v_sub_u32_e32 v7, v0, v7
	v_mad_u64_u32 v[9:10], s[10:11], s20, v7, 0
	s_waitcnt lgkmcnt(0)
	v_mul_lo_u32 v8, s1, v3
	v_mul_lo_u32 v15, s0, v4
	v_mad_u64_u32 v[11:12], s[0:1], s0, v3, 0
	v_mov_b32_e32 v0, v10
	v_mad_u64_u32 v[13:14], s[0:1], s21, v7, v[0:1]
	v_add3_u32 v12, v12, v15, v8
	v_lshlrev_b64 v[11:12], 2, v[11:12]
	v_mov_b32_e32 v10, v13
	v_mov_b32_e32 v0, s13
	v_add_co_u32_e64 v13, s[0:1], s12, v11
	v_add_u32_e32 v8, 0x9a, v7
	v_addc_co_u32_e64 v0, s[0:1], v0, v12, s[0:1]
	v_mad_u64_u32 v[11:12], s[0:1], s20, v8, 0
	v_add_co_u32_e64 v41, s[0:1], v13, v5
	v_addc_co_u32_e64 v42, s[0:1], v0, v6, s[0:1]
	v_mov_b32_e32 v0, v12
	v_lshlrev_b64 v[5:6], 2, v[9:10]
	v_mad_u64_u32 v[9:10], s[0:1], s21, v8, v[0:1]
	v_add_u32_e32 v10, 0x134, v7
	v_mad_u64_u32 v[13:14], s[0:1], s20, v10, 0
	v_add_co_u32_e64 v5, s[0:1], v41, v5
	v_mov_b32_e32 v12, v9
	v_mov_b32_e32 v0, v14
	v_addc_co_u32_e64 v6, s[0:1], v42, v6, s[0:1]
	v_lshlrev_b64 v[15:16], 2, v[11:12]
	v_mad_u64_u32 v[17:18], s[0:1], s21, v10, v[0:1]
	v_add_u32_e32 v11, 0x1ce, v7
	v_mad_u64_u32 v[18:19], s[0:1], s20, v11, 0
	v_add_co_u32_e64 v15, s[0:1], v41, v15
	v_mov_b32_e32 v0, v19
	v_addc_co_u32_e64 v16, s[0:1], v42, v16, s[0:1]
	v_mad_u64_u32 v[19:20], s[0:1], s21, v11, v[0:1]
	v_add_u32_e32 v12, 0x268, v7
	v_mad_u64_u32 v[20:21], s[0:1], s20, v12, 0
	v_mov_b32_e32 v14, v17
	v_lshlrev_b64 v[13:14], 2, v[13:14]
	v_mov_b32_e32 v0, v21
	v_add_co_u32_e64 v26, s[0:1], v41, v13
	v_addc_co_u32_e64 v27, s[0:1], v42, v14, s[0:1]
	v_mad_u64_u32 v[21:22], s[0:1], s21, v12, v[0:1]
	v_add_u32_e32 v13, 0x302, v7
	v_mad_u64_u32 v[22:23], s[0:1], s20, v13, 0
	v_lshlrev_b64 v[17:18], 2, v[18:19]
	v_add_u32_e32 v9, 0x39c, v7
	v_add_co_u32_e64 v17, s[0:1], v41, v17
	v_mov_b32_e32 v0, v23
	v_addc_co_u32_e64 v18, s[0:1], v42, v18, s[0:1]
	v_mad_u64_u32 v[23:24], s[0:1], s21, v13, v[0:1]
	v_mad_u64_u32 v[24:25], s[0:1], s20, v9, 0
	v_lshlrev_b64 v[19:20], 2, v[20:21]
	v_add_co_u32_e64 v28, s[0:1], v41, v19
	v_mov_b32_e32 v0, v25
	v_addc_co_u32_e64 v29, s[0:1], v42, v20, s[0:1]
	v_lshlrev_b64 v[19:20], 2, v[22:23]
	v_mad_u64_u32 v[21:22], s[0:1], s21, v9, v[0:1]
	v_add_u32_e32 v9, 0x436, v7
	v_mad_u64_u32 v[22:23], s[0:1], s20, v9, 0
	v_add_co_u32_e64 v30, s[0:1], v41, v19
	v_mov_b32_e32 v25, v21
	v_addc_co_u32_e64 v31, s[0:1], v42, v20, s[0:1]
	v_lshlrev_b64 v[19:20], 2, v[24:25]
	v_mov_b32_e32 v0, v23
	v_mad_u64_u32 v[23:24], s[0:1], s21, v9, v[0:1]
	v_add_co_u32_e64 v32, s[0:1], v41, v19
	v_add_u32_e32 v9, 0x4d0, v7
	v_addc_co_u32_e64 v33, s[0:1], v42, v20, s[0:1]
	v_mad_u64_u32 v[34:35], s[0:1], s20, v9, 0
	v_lshlrev_b64 v[19:20], 2, v[22:23]
	v_add_co_u32_e64 v36, s[0:1], v41, v19
	v_mov_b32_e32 v0, v35
	v_addc_co_u32_e64 v37, s[0:1], v42, v20, s[0:1]
	v_mad_u64_u32 v[38:39], s[0:1], s21, v9, v[0:1]
	v_add_u32_e32 v9, 0x56a, v7
	v_mad_u64_u32 v[39:40], s[0:1], s20, v9, 0
	global_load_dword v24, v[15:16], off
	global_load_dword v23, v[26:27], off
	;; [unrolled: 1-line block ×7, first 2 shown]
	v_mov_b32_e32 v35, v38
	v_mov_b32_e32 v0, v40
	v_mad_u64_u32 v[16:17], s[0:1], s21, v9, v[0:1]
	v_add_u32_e32 v9, 0x604, v7
	v_mad_u64_u32 v[17:18], s[0:1], s20, v9, 0
	v_lshlrev_b64 v[14:15], 2, v[34:35]
	v_mov_b32_e32 v40, v16
	v_add_co_u32_e64 v14, s[0:1], v41, v14
	v_mov_b32_e32 v0, v18
	v_addc_co_u32_e64 v15, s[0:1], v42, v15, s[0:1]
	v_mad_u64_u32 v[28:29], s[0:1], s21, v9, v[0:1]
	v_lshlrev_b64 v[26:27], 2, v[39:40]
	v_mov_b32_e32 v18, v28
	v_add_co_u32_e64 v26, s[0:1], v41, v26
	v_lshlrev_b64 v[16:17], 2, v[17:18]
	v_addc_co_u32_e64 v27, s[0:1], v42, v27, s[0:1]
	v_add_co_u32_e64 v16, s[0:1], v41, v16
	v_addc_co_u32_e64 v17, s[0:1], v42, v17, s[0:1]
	global_load_dword v34, v[14:15], off
	global_load_dword v39, v[26:27], off
	;; [unrolled: 1-line block ×4, first 2 shown]
	s_waitcnt vmcnt(10)
	v_lshrrev_b32_e32 v37, 16, v24
	s_waitcnt vmcnt(9)
	v_lshrrev_b32_e32 v36, 16, v23
	;; [unrolled: 2-line block ×10, first 2 shown]
.LBB0_13:
	s_or_b64 exec, exec, s[6:7]
	v_sub_f16_e32 v9, v37, v44
	v_add_f16_e32 v6, v24, v42
	s_mov_b32 s17, 0xbbad
	v_mul_f16_e32 v0, 0xb482, v9
	v_sub_f16_e32 v27, v36, v43
	v_fma_f16 v5, v6, s17, -v0
	v_add_f16_e32 v26, v23, v39
	s_movk_i32 s12, 0x3abb
	v_mul_f16_e32 v14, 0x3853, v27
	s_waitcnt vmcnt(0)
	v_add_f16_e32 v5, v5, v18
	v_fma_f16 v15, v26, s12, -v14
	v_sub_f16_e32 v29, v35, v41
	v_add_f16_e32 v5, v15, v5
	s_mov_b32 s11, 0xb93d
	v_add_f16_e32 v28, v22, v34
	v_mul_f16_e32 v15, 0xba0c, v29
	v_fma_f16 v16, v28, s11, -v15
	v_sub_f16_e32 v40, v32, v38
	v_add_f16_e32 v5, v16, v5
	s_movk_i32 s13, 0x36a6
	v_add_f16_e32 v30, v20, v25
	v_mul_f16_e32 v16, 0x3b47, v40
	v_fma_f16 v17, v30, s13, -v16
	v_sub_f16_e32 v46, v31, v33
	v_add_f16_e32 v5, v17, v5
	s_mov_b32 s10, 0xb08e
	v_add_f16_e32 v45, v19, v21
	v_mul_f16_e32 v17, 0xbbeb, v46
	v_fma_f16 v47, v45, s10, -v17
	s_mov_b32 s20, 0xbb47b853
	v_add_f16_e32 v5, v47, v5
	s_mov_b32 s18, 0x36a63abb
	v_pk_mul_f16 v47, v9, s20 op_sel_hi:[0,1]
	s_mov_b32 s22, 0xba0cbb47
	v_pk_fma_f16 v48, v6, s18, v47 op_sel_hi:[0,1,1] neg_lo:[0,0,1] neg_hi:[0,0,1]
	s_mov_b32 s19, 0xb93d36a6
	v_pk_mul_f16 v49, v27, s22 op_sel_hi:[0,1]
	v_pk_add_f16 v48, v48, v18 op_sel_hi:[1,0]
	v_pk_fma_f16 v50, v26, s19, v49 op_sel_hi:[0,1,1] neg_lo:[0,0,1] neg_hi:[0,0,1]
	s_mov_b32 s24, 0x3482bbeb
	v_pk_add_f16 v48, v50, v48
	s_mov_b32 s21, 0xbbadb08e
	v_pk_mul_f16 v50, v29, s24 op_sel_hi:[0,1]
	v_pk_fma_f16 v51, v28, s21, v50 op_sel_hi:[0,1,1] neg_lo:[0,0,1] neg_hi:[0,0,1]
	s_mov_b32 s26, 0x3bebba0c
	v_pk_add_f16 v48, v51, v48
	s_mov_b32 s23, 0xb08eb93d
	v_pk_mul_f16 v51, v40, s26 op_sel_hi:[0,1]
	;; [unrolled: 5-line block ×4, first 2 shown]
	s_mov_b32 s33, 0x3beb3482
	v_pk_fma_f16 v54, v6, s27, v53 op_sel_hi:[0,1,1] neg_lo:[0,0,1] neg_hi:[0,0,1]
	s_mov_b32 s29, 0xb08ebbad
	v_pk_mul_f16 v55, v27, s33 op_sel_hi:[0,1]
	v_pk_add_f16 v54, v54, v18 op_sel_hi:[1,0]
	v_pk_fma_f16 v56, v26, s29, v55 op_sel_hi:[0,1,1] neg_lo:[0,0,1] neg_hi:[0,0,1]
	s_mov_b32 s35, 0xb8533b47
	v_pk_add_f16 v54, v56, v54
	s_mov_b32 s31, 0x3abb36a6
	v_pk_mul_f16 v56, v29, s35 op_sel_hi:[0,1]
	v_pk_fma_f16 v57, v28, s31, v56 op_sel_hi:[0,1,1] neg_lo:[0,0,1] neg_hi:[0,0,1]
	s_mov_b32 s37, 0xb482b853
	v_pk_add_f16 v54, v57, v54
	s_mov_b32 s34, 0xbbad3abb
	v_pk_mul_f16 v57, v40, s37 op_sel_hi:[0,1]
	;; [unrolled: 5-line block ×3, first 2 shown]
	v_pk_fma_f16 v59, v45, s36, v58 op_sel_hi:[0,1,1] neg_lo:[0,0,1] neg_hi:[0,0,1]
	s_mov_b32 s16, 0xffff
	v_pk_add_f16 v54, v59, v54
	v_bfi_b32 v0, s16, v0, v53
	v_mul_f16_e32 v53, 0xbbad, v6
	v_pk_mul_f16 v59, v6, s27 op_sel_hi:[0,1]
	v_bfi_b32 v53, s16, v53, v59
	v_pk_add_f16 v0, v0, v53
	v_bfi_b32 v14, s16, v14, v55
	v_mul_f16_e32 v53, 0x3abb, v26
	v_pk_mul_f16 v55, v26, s29 op_sel_hi:[0,1]
	v_bfi_b32 v53, s16, v53, v55
	v_pk_add_f16 v14, v14, v53
	v_pk_add_f16 v0, v0, v18 op_sel_hi:[1,0]
	v_pk_add_f16 v0, v14, v0
	v_bfi_b32 v14, s16, v15, v56
	v_mul_f16_e32 v15, 0xb93d, v28
	v_pk_mul_f16 v53, v28, s31 op_sel_hi:[0,1]
	v_bfi_b32 v15, s16, v15, v53
	v_pk_add_f16 v14, v14, v15
	v_pk_add_f16 v0, v14, v0
	v_bfi_b32 v14, s16, v16, v57
	v_mul_f16_e32 v15, 0x36a6, v30
	v_pk_mul_f16 v16, v30, s34 op_sel_hi:[0,1]
	v_bfi_b32 v15, s16, v15, v16
	v_pk_add_f16 v14, v14, v15
	v_mul_f16_e32 v15, 0xb08e, v45
	v_pk_mul_f16 v16, v45, s36 op_sel_hi:[0,1]
	v_pk_add_f16 v0, v14, v0
	v_bfi_b32 v14, s16, v17, v58
	v_bfi_b32 v15, s16, v15, v16
	v_pk_add_f16 v14, v14, v15
	v_pk_add_f16 v17, v14, v0
	v_add_f16_e32 v0, v24, v18
	v_add_f16_e32 v0, v23, v0
	;; [unrolled: 1-line block ×5, first 2 shown]
	s_mov_b32 s39, 0x36a6b08e
	v_alignbit_b32 v16, v5, v54, 16
	v_add_f16_e32 v0, v21, v0
	v_fma_f16 v5, v6, s12, v47
	s_mov_b32 s0, 0xbb47bbeb
	v_pk_mul_f16 v6, v6, s39 op_sel_hi:[0,1]
	s_mov_b32 s40, 0xb93dbbad
	v_add_f16_e32 v0, v25, v0
	v_pk_fma_f16 v6, v9, s0, v6 op_sel_hi:[0,1,1]
	s_mov_b32 s0, 0xba0c3482
	v_pk_mul_f16 v9, v26, s40 op_sel_hi:[0,1]
	v_add_f16_e32 v0, v34, v0
	v_pk_fma_f16 v9, v27, s0, v9 op_sel_hi:[0,1,1]
	v_pk_add_f16 v6, v6, v18 op_sel_hi:[1,0]
	s_mov_b32 s41, 0xbbad36a6
	v_add_f16_e32 v0, v39, v0
	v_pk_add_f16 v6, v9, v6
	s_mov_b32 s0, 0x34823b47
	v_pk_mul_f16 v9, v28, s41 op_sel_hi:[0,1]
	v_add_f16_e32 v0, v42, v0
	v_pk_fma_f16 v9, v29, s0, v9 op_sel_hi:[0,1,1]
	s_mov_b32 s42, 0xb08e3abb
	v_alignbit_b32 v15, v54, v48, 16
	v_pack_b32_f16 v14, v0, v48
	v_mad_u32_u24 v0, v7, 22, 0
	v_pk_add_f16 v6, v9, v6
	s_mov_b32 s0, 0x3bebb853
	v_pk_mul_f16 v9, v30, s42 op_sel_hi:[0,1]
	ds_write_b128 v0, v[14:17]
	v_add_f16_e32 v5, v5, v18
	v_fma_f16 v14, v26, s13, v49
	v_pk_fma_f16 v9, v40, s0, v9 op_sel_hi:[0,1,1]
	s_mov_b32 s43, 0x3abbb93d
	v_add_f16_e32 v5, v14, v5
	v_fma_f16 v14, v28, s10, v50
	v_pk_add_f16 v6, v9, v6
	s_mov_b32 s0, 0x3853ba0c
	v_pk_mul_f16 v9, v45, s43 op_sel_hi:[0,1]
	v_add_f16_e32 v5, v14, v5
	v_fma_f16 v14, v30, s11, v51
	v_pk_fma_f16 v9, v46, s0, v9 op_sel_hi:[0,1,1]
	s_movk_i32 s0, 0xffec
	v_add_f16_e32 v5, v14, v5
	v_fma_f16 v14, v45, s17, v52
	v_pk_add_f16 v6, v9, v6
	v_mad_i32_i24 v9, v7, s0, v0
	v_add_f16_e32 v5, v14, v5
	s_load_dwordx2 s[4:5], s[4:5], 0x0
	ds_write_b32 v0, v6 offset:16
	ds_write_b16 v0, v5 offset:20
	s_waitcnt lgkmcnt(0)
	s_barrier
	ds_read_u16 v26, v9 offset:1694
	ds_read_u16 v27, v9 offset:2002
	;; [unrolled: 1-line block ×5, first 2 shown]
	v_lshl_add_u32 v6, v8, 1, 0
	v_lshl_add_u32 v14, v10, 1, 0
	;; [unrolled: 1-line block ×3, first 2 shown]
	ds_read_u16 v45, v6
	ds_read_u16 v46, v14
	ds_read_u16 v47, v15
	v_lshl_add_u32 v16, v12, 1, 0
	ds_read_u16 v49, v9
	ds_read_u16 v48, v16
	s_movk_i32 s0, 0x4d
	v_mul_i32_i24_e32 v9, 0xffffffec, v7
	v_cmp_gt_u32_e64 s[0:1], s0, v7
	v_add_u32_e32 v9, v0, v9
	v_lshl_add_u32 v17, v13, 1, 0
                                        ; implicit-def: $vgpr40
	s_and_saveexec_b64 s[6:7], s[0:1]
	s_cbranch_execz .LBB0_15
; %bb.14:
	ds_read_u16 v5, v17
	ds_read_u16 v40, v9 offset:3234
.LBB0_15:
	s_or_b64 exec, exec, s[6:7]
	v_add_f16_sdwa v50, v37, v18 dst_sel:DWORD dst_unused:UNUSED_PAD src0_sel:DWORD src1_sel:WORD_1
	v_add_f16_e32 v50, v36, v50
	v_add_f16_e32 v50, v35, v50
	v_add_f16_e32 v50, v32, v50
	v_add_f16_e32 v50, v31, v50
	v_add_f16_e32 v50, v33, v50
	v_add_f16_e32 v50, v38, v50
	v_add_f16_e32 v50, v41, v50
	v_add_f16_e32 v50, v43, v50
	v_sub_f16_e32 v24, v24, v42
	v_add_f16_e32 v50, v44, v50
	v_add_f16_e32 v37, v37, v44
	v_mul_f16_e32 v44, 0xb482, v24
	v_sub_f16_e32 v23, v23, v39
	v_fma_f16 v51, v37, s17, v44
	v_add_f16_e32 v36, v36, v43
	v_mul_f16_e32 v43, 0x3853, v23
	v_sub_f16_e32 v22, v22, v34
	v_add_f16_sdwa v51, v51, v18 dst_sel:DWORD dst_unused:UNUSED_PAD src0_sel:DWORD src1_sel:WORD_1
	v_fma_f16 v52, v36, s12, v43
	v_add_f16_e32 v35, v35, v41
	v_mul_f16_e32 v41, 0xba0c, v22
	v_sub_f16_e32 v20, v20, v25
	v_add_f16_e32 v51, v52, v51
	v_fma_f16 v52, v35, s11, v41
	v_add_f16_e32 v32, v32, v38
	v_mul_f16_e32 v38, 0x3b47, v20
	v_add_f16_e32 v51, v52, v51
	v_fma_f16 v52, v32, s13, v38
	v_sub_f16_e32 v21, v19, v21
	v_pk_mul_f16 v19, v24, s20 op_sel_hi:[0,1]
	v_add_f16_e32 v51, v52, v51
	v_add_f16_e32 v31, v31, v33
	v_fma_f16 v33, v37, s12, -v19
	v_pk_fma_f16 v19, v37, s18, v19 op_sel_hi:[0,1,1]
	v_pk_mul_f16 v52, v23, s22 op_sel_hi:[0,1]
	v_pk_add_f16 v19, v19, v18 op_sel:[0,1]
	v_fma_f16 v53, v36, s13, -v52
	v_pk_fma_f16 v52, v36, s19, v52 op_sel_hi:[0,1,1]
	v_add_f16_sdwa v33, v33, v18 dst_sel:DWORD dst_unused:UNUSED_PAD src0_sel:DWORD src1_sel:WORD_1
	v_pk_add_f16 v19, v52, v19
	v_pk_mul_f16 v52, v22, s24 op_sel_hi:[0,1]
	v_add_f16_e32 v33, v53, v33
	v_fma_f16 v53, v35, s10, -v52
	v_pk_fma_f16 v52, v35, s21, v52 op_sel_hi:[0,1,1]
	v_pk_add_f16 v19, v52, v19
	v_pk_mul_f16 v52, v20, s26 op_sel_hi:[0,1]
	v_add_f16_e32 v33, v53, v33
	v_fma_f16 v53, v32, s11, -v52
	v_pk_fma_f16 v52, v32, s23, v52 op_sel_hi:[0,1,1]
	v_add_f16_e32 v33, v53, v33
	v_pk_add_f16 v52, v52, v19
	v_pk_mul_f16 v19, v31, s25 op_sel_hi:[0,1]
	v_pk_mul_f16 v53, v21, s28 op_sel_hi:[0,1]
	s_mov_b32 s6, 0x3b473beb
	v_pk_fma_f16 v54, v31, s25, v53 op_sel_hi:[0,1,1]
	v_sub_f16_e32 v19, v19, v53
	v_pk_mul_f16 v53, v24, s30 op_sel_hi:[0,1]
	v_pk_mul_f16 v24, v24, s6 op_sel_hi:[0,1]
	s_mov_b32 s6, 0x3a0cb482
	v_pk_mul_f16 v56, v23, s33 op_sel_hi:[0,1]
	v_pk_fma_f16 v24, v37, s39, v24 op_sel_hi:[0,1,1]
	v_pk_mul_f16 v23, v23, s6 op_sel_hi:[0,1]
	s_mov_b32 s6, 0xb482bb47
	v_pk_mul_f16 v58, v22, s35 op_sel_hi:[0,1]
	v_pk_add_f16 v24, v24, v18 op_sel:[0,1]
	v_pk_fma_f16 v23, v36, s40, v23 op_sel_hi:[0,1,1]
	v_pk_mul_f16 v22, v22, s6 op_sel_hi:[0,1]
	s_mov_b32 s6, 0xbbeb3853
	v_add_f16_e32 v19, v19, v33
	v_pk_add_f16 v33, v54, v52
	v_pk_fma_f16 v54, v37, s27, v53 op_sel_hi:[0,1,1]
	v_pk_mul_f16 v60, v20, s37 op_sel_hi:[0,1]
	v_pk_add_f16 v23, v23, v24
	v_pk_fma_f16 v22, v35, s41, v22 op_sel_hi:[0,1,1]
	v_pk_mul_f16 v20, v20, s6 op_sel_hi:[0,1]
	v_pk_add_f16 v54, v54, v18 op_sel:[0,1]
	v_pk_fma_f16 v57, v36, s29, v56 op_sel_hi:[0,1,1]
	v_pk_add_f16 v22, v22, v23
	v_pk_fma_f16 v20, v32, s42, v20 op_sel_hi:[0,1,1]
	s_mov_b32 s6, 0xb8533a0c
	v_pk_add_f16 v54, v57, v54
	v_pk_fma_f16 v59, v35, s31, v58 op_sel_hi:[0,1,1]
	v_pk_mul_f16 v62, v21, s38 op_sel_hi:[0,1]
	v_pk_add_f16 v20, v20, v22
	v_pk_mul_f16 v22, v21, s6 op_sel_hi:[0,1]
	v_mul_f16_e32 v21, 0xbbeb, v21
	v_mul_f16_e32 v42, 0xbbad, v37
	v_pk_mul_f16 v52, v37, s27 op_sel_hi:[0,1]
	v_pk_add_f16 v54, v59, v54
	v_pk_fma_f16 v61, v32, s34, v60 op_sel_hi:[0,1,1]
	v_pk_fma_f16 v22, v31, s43, v22 op_sel_hi:[0,1,1]
	v_fma_f16 v23, v31, s10, v21
	v_mul_f16_e32 v25, 0x36a6, v32
	v_pk_mul_f16 v59, v32, s34 op_sel_hi:[0,1]
	v_pk_add_f16 v54, v61, v54
	v_pk_mul_f16 v61, v31, s36 op_sel_hi:[0,1]
	v_pk_fma_f16 v63, v31, s36, v62 op_sel_hi:[0,1,1]
	v_pk_add_f16 v24, v22, v20
	v_mul_f16_e32 v22, 0xb08e, v31
	v_add_f16_e32 v31, v23, v51
	v_bfi_b32 v23, s16, v42, v52
	v_bfi_b32 v32, s16, v44, v53
	v_mul_f16_e32 v39, 0x3abb, v36
	v_pk_mul_f16 v55, v36, s29 op_sel_hi:[0,1]
	v_pk_add_f16 v23, v23, v32 neg_lo:[0,1] neg_hi:[0,1]
	v_pk_add_f16 v18, v23, v18 op_sel:[0,1]
	v_bfi_b32 v23, s16, v39, v55
	v_bfi_b32 v32, s16, v43, v56
	v_mul_f16_e32 v34, 0xb93d, v35
	v_pk_mul_f16 v57, v35, s31 op_sel_hi:[0,1]
	v_pk_add_f16 v23, v23, v32 neg_lo:[0,1] neg_hi:[0,1]
	v_pk_add_f16 v18, v23, v18
	v_bfi_b32 v23, s16, v34, v57
	v_bfi_b32 v32, s16, v41, v58
	v_pk_add_f16 v23, v23, v32 neg_lo:[0,1] neg_hi:[0,1]
	v_pk_add_f16 v18, v23, v18
	v_bfi_b32 v23, s16, v25, v59
	v_bfi_b32 v25, s16, v38, v60
	v_pk_add_f16 v23, v23, v25 neg_lo:[0,1] neg_hi:[0,1]
	v_bfi_b32 v22, s16, v22, v61
	v_bfi_b32 v21, s16, v21, v62
	v_pk_add_f16 v20, v63, v54
	v_pk_add_f16 v18, v23, v18
	v_pk_add_f16 v21, v22, v21 neg_lo:[0,1] neg_hi:[0,1]
	v_pk_add_f16 v23, v21, v18
	v_alignbit_b32 v22, v31, v20, 16
	v_alignbit_b32 v21, v20, v33, 16
	v_pack_b32_f16 v20, v50, v33
	s_waitcnt lgkmcnt(0)
	s_barrier
	ds_write_b128 v0, v[20:23]
	ds_write_b32 v0, v24 offset:16
	ds_write_b16 v0, v19 offset:20
	s_waitcnt lgkmcnt(0)
	s_barrier
	ds_read_u16 v24, v9 offset:1694
	ds_read_u16 v25, v9 offset:2002
	;; [unrolled: 1-line block ×3, first 2 shown]
	ds_read_u16 v22, v6
	ds_read_u16 v20, v14
	;; [unrolled: 1-line block ×5, first 2 shown]
	ds_read_u16 v33, v9 offset:2618
	ds_read_u16 v32, v9 offset:2926
                                        ; implicit-def: $vgpr34
	s_and_saveexec_b64 s[6:7], s[0:1]
	s_cbranch_execz .LBB0_17
; %bb.16:
	ds_read_u16 v19, v17
	ds_read_u16 v34, v9 offset:3234
.LBB0_17:
	s_or_b64 exec, exec, s[6:7]
	s_movk_i32 s6, 0x75
	v_mul_lo_u16_sdwa v0, v7, s6 dst_sel:DWORD dst_unused:UNUSED_PAD src0_sel:BYTE_0 src1_sel:DWORD
	v_sub_u16_sdwa v35, v7, v0 dst_sel:DWORD dst_unused:UNUSED_PAD src0_sel:DWORD src1_sel:BYTE_1
	v_lshrrev_b16_e32 v35, 1, v35
	v_and_b32_e32 v35, 0x7f, v35
	v_add_u16_sdwa v0, v35, v0 dst_sel:DWORD dst_unused:UNUSED_PAD src0_sel:DWORD src1_sel:BYTE_1
	v_lshrrev_b16_e32 v0, 3, v0
	v_mul_lo_u16_e32 v35, 11, v0
	v_sub_u16_e32 v42, v7, v35
	v_mov_b32_e32 v35, 2
	s_mov_b32 s6, 0xba2f
	v_lshlrev_b32_sdwa v37, v35, v42 dst_sel:DWORD dst_unused:UNUSED_PAD src0_sel:DWORD src1_sel:BYTE_0
	v_mul_u32_u24_sdwa v35, v8, s6 dst_sel:DWORD dst_unused:UNUSED_PAD src0_sel:WORD_0 src1_sel:DWORD
	v_lshrrev_b32_e32 v38, 19, v35
	v_mul_lo_u16_e32 v35, 11, v38
	v_sub_u16_e32 v39, v8, v35
	v_mul_u32_u24_sdwa v35, v10, s6 dst_sel:DWORD dst_unused:UNUSED_PAD src0_sel:WORD_0 src1_sel:DWORD
	v_lshrrev_b32_e32 v43, 19, v35
	v_mul_lo_u16_e32 v35, 11, v43
	v_sub_u16_e32 v44, v10, v35
	;; [unrolled: 4-line block ×5, first 2 shown]
	v_lshlrev_b32_e32 v41, 2, v39
	v_lshlrev_b32_e32 v50, 2, v44
	;; [unrolled: 1-line block ×5, first 2 shown]
	global_load_dword v36, v37, s[8:9]
	global_load_dword v35, v41, s[8:9]
	global_load_dword v13, v50, s[8:9]
	global_load_dword v12, v53, s[8:9]
	global_load_dword v11, v56, s[8:9]
	global_load_dword v10, v59, s[8:9]
	v_mov_b32_e32 v50, 1
	v_mul_u32_u24_e32 v37, 44, v38
	v_mul_u32_u24_e32 v38, 44, v43
	;; [unrolled: 1-line block ×4, first 2 shown]
	v_lshlrev_b32_e32 v39, 1, v39
	v_lshlrev_b32_e32 v44, 1, v44
	;; [unrolled: 1-line block ×4, first 2 shown]
	v_mul_u32_u24_e32 v0, 44, v0
	v_lshlrev_b32_sdwa v42, v50, v42 dst_sel:DWORD dst_unused:UNUSED_PAD src0_sel:DWORD src1_sel:BYTE_0
	v_add3_u32 v41, 0, v37, v39
	v_add3_u32 v39, 0, v38, v44
	;; [unrolled: 1-line block ×5, first 2 shown]
	s_waitcnt vmcnt(0) lgkmcnt(0)
	s_barrier
	v_mul_f16_sdwa v0, v24, v36 dst_sel:DWORD dst_unused:UNUSED_PAD src0_sel:DWORD src1_sel:WORD_1
	v_mul_f16_sdwa v43, v25, v35 dst_sel:DWORD dst_unused:UNUSED_PAD src0_sel:DWORD src1_sel:WORD_1
	v_mul_f16_sdwa v44, v31, v13 dst_sel:DWORD dst_unused:UNUSED_PAD src0_sel:DWORD src1_sel:WORD_1
	v_mul_f16_sdwa v50, v33, v12 dst_sel:DWORD dst_unused:UNUSED_PAD src0_sel:DWORD src1_sel:WORD_1
	v_mul_f16_sdwa v51, v32, v11 dst_sel:DWORD dst_unused:UNUSED_PAD src0_sel:DWORD src1_sel:WORD_1
	v_mul_f16_sdwa v52, v34, v10 dst_sel:DWORD dst_unused:UNUSED_PAD src0_sel:DWORD src1_sel:WORD_1
	v_fma_f16 v0, v26, v36, -v0
	v_fma_f16 v43, v27, v35, -v43
	;; [unrolled: 1-line block ×6, first 2 shown]
	v_sub_f16_e32 v53, v49, v0
	v_sub_f16_e32 v43, v45, v43
	;; [unrolled: 1-line block ×6, first 2 shown]
	v_fma_f16 v49, v49, 2.0, -v53
	v_fma_f16 v45, v45, 2.0, -v43
	;; [unrolled: 1-line block ×5, first 2 shown]
	ds_write_b16 v42, v53 offset:22
	ds_write_b16 v42, v49
	ds_write_b16 v41, v45
	ds_write_b16 v41, v43 offset:22
	ds_write_b16 v39, v46
	ds_write_b16 v39, v44 offset:22
	;; [unrolled: 2-line block ×4, first 2 shown]
	v_mul_lo_u16_e32 v43, 22, v57
	v_lshlrev_b32_e32 v44, 1, v58
	s_and_saveexec_b64 s[6:7], s[0:1]
	s_cbranch_execz .LBB0_19
; %bb.18:
	v_lshlrev_b32_e32 v45, 1, v43
	v_fma_f16 v5, v5, 2.0, -v0
	v_add3_u32 v45, 0, v44, v45
	ds_write_b16 v45, v5
	ds_write_b16 v45, v0 offset:22
.LBB0_19:
	s_or_b64 exec, exec, s[6:7]
	v_mul_f16_sdwa v5, v26, v36 dst_sel:DWORD dst_unused:UNUSED_PAD src0_sel:DWORD src1_sel:WORD_1
	v_fma_f16 v5, v24, v36, v5
	v_mul_f16_sdwa v24, v27, v35 dst_sel:DWORD dst_unused:UNUSED_PAD src0_sel:DWORD src1_sel:WORD_1
	v_fma_f16 v24, v25, v35, v24
	;; [unrolled: 2-line block ×6, first 2 shown]
	v_sub_f16_e32 v26, v23, v5
	v_sub_f16_e32 v28, v22, v24
	;; [unrolled: 1-line block ×5, first 2 shown]
	v_fma_f16 v27, v23, 2.0, -v26
	v_fma_f16 v29, v22, 2.0, -v28
	;; [unrolled: 1-line block ×5, first 2 shown]
	v_sub_f16_e32 v5, v19, v10
	s_waitcnt lgkmcnt(0)
	s_barrier
	ds_read_u16 v23, v6
	ds_read_u16 v22, v14
	;; [unrolled: 1-line block ×3, first 2 shown]
	ds_read_u16 v18, v9 offset:1848
	ds_read_u16 v12, v9 offset:2156
	;; [unrolled: 1-line block ×3, first 2 shown]
	ds_read_u16 v10, v9
	ds_read_u16 v24, v16
	ds_read_u16 v13, v9 offset:2772
	ds_read_u16 v25, v17
	ds_read_u16 v20, v9 offset:3080
	s_waitcnt lgkmcnt(0)
	s_barrier
	ds_write_b16 v42, v27
	ds_write_b16 v42, v26 offset:22
	ds_write_b16 v41, v29
	ds_write_b16 v41, v28 offset:22
	;; [unrolled: 2-line block ×5, first 2 shown]
	s_and_saveexec_b64 s[6:7], s[0:1]
	s_cbranch_execz .LBB0_21
; %bb.20:
	v_lshlrev_b32_e32 v26, 1, v43
	v_fma_f16 v19, v19, 2.0, -v5
	v_add3_u32 v26, 0, v44, v26
	ds_write_b16 v26, v19
	ds_write_b16 v26, v5 offset:22
.LBB0_21:
	s_or_b64 exec, exec, s[6:7]
	v_lshrrev_b16_e32 v19, 1, v7
	v_and_b32_e32 v19, 0x7f, v19
	v_mul_lo_u16_e32 v19, 0xbb, v19
	v_lshrrev_b16_e32 v26, 11, v19
	v_mul_lo_u16_e32 v19, 22, v26
	v_sub_u16_e32 v43, v7, v19
	v_mov_b32_e32 v19, 10
	v_mul_u32_u24_sdwa v19, v43, v19 dst_sel:DWORD dst_unused:UNUSED_PAD src0_sel:BYTE_0 src1_sel:DWORD
	v_lshlrev_b32_e32 v19, 2, v19
	s_waitcnt lgkmcnt(0)
	s_barrier
	global_load_dwordx4 v[28:31], v19, s[8:9] offset:44
	global_load_dwordx4 v[37:40], v19, s[8:9] offset:60
	global_load_dwordx2 v[41:42], v19, s[8:9] offset:76
	ds_read_u16 v19, v6
	ds_read_u16 v27, v14
	;; [unrolled: 1-line block ×5, first 2 shown]
	ds_read_u16 v35, v9 offset:1848
	ds_read_u16 v44, v9 offset:2156
	;; [unrolled: 1-line block ×4, first 2 shown]
	ds_read_u16 v17, v17
	ds_read_u16 v47, v9 offset:3080
	s_mov_b32 s10, 0xbbad
	s_movk_i32 s11, 0x3abb
	s_mov_b32 s12, 0xb93d
	s_movk_i32 s22, 0x36a6
	s_mov_b32 s0, 0xb853bb47
	s_mov_b32 s13, 0x3abb36a6
	;; [unrolled: 1-line block ×10, first 2 shown]
	s_waitcnt vmcnt(0) lgkmcnt(0)
	s_barrier
	v_mul_f16_sdwa v32, v19, v28 dst_sel:DWORD dst_unused:UNUSED_PAD src0_sel:DWORD src1_sel:WORD_1
	v_mul_f16_sdwa v33, v23, v28 dst_sel:DWORD dst_unused:UNUSED_PAD src0_sel:DWORD src1_sel:WORD_1
	;; [unrolled: 1-line block ×9, first 2 shown]
	v_fma_f16 v34, v23, v28, -v32
	v_mul_f16_sdwa v50, v15, v30 dst_sel:DWORD dst_unused:UNUSED_PAD src0_sel:DWORD src1_sel:WORD_1
	v_mul_f16_sdwa v52, v16, v31 dst_sel:DWORD dst_unused:UNUSED_PAD src0_sel:DWORD src1_sel:WORD_1
	;; [unrolled: 1-line block ×4, first 2 shown]
	v_fma_f16 v36, v19, v28, v33
	v_fma_f16 v32, v22, v29, -v48
	v_fma_f16 v33, v27, v29, v49
	v_fma_f16 v27, v16, v31, v53
	;; [unrolled: 1-line block ×3, first 2 shown]
	v_fma_f16 v17, v18, v38, -v56
	v_fma_f16 v18, v35, v38, v57
	v_fma_f16 v35, v11, v40, -v60
	v_add_f16_e32 v11, v10, v34
	v_fma_f16 v28, v21, v30, -v50
	v_add_f16_e32 v11, v11, v32
	v_mul_f16_sdwa v51, v21, v30 dst_sel:DWORD dst_unused:UNUSED_PAD src0_sel:DWORD src1_sel:WORD_1
	v_mul_f16_sdwa v58, v44, v39 dst_sel:DWORD dst_unused:UNUSED_PAD src0_sel:DWORD src1_sel:WORD_1
	;; [unrolled: 1-line block ×6, first 2 shown]
	v_fma_f16 v19, v24, v31, -v52
	v_add_f16_e32 v11, v11, v28
	v_mul_f16_sdwa v64, v47, v42 dst_sel:DWORD dst_unused:UNUSED_PAD src0_sel:DWORD src1_sel:WORD_1
	v_fma_f16 v30, v15, v30, v51
	v_fma_f16 v15, v25, v37, -v54
	v_fma_f16 v29, v12, v39, -v58
	v_fma_f16 v31, v44, v39, v59
	v_fma_f16 v38, v13, v41, -v62
	v_fma_f16 v39, v46, v41, v63
	v_fma_f16 v41, v47, v42, v65
	v_add_f16_e32 v11, v11, v19
	v_fma_f16 v37, v45, v40, v61
	v_fma_f16 v40, v20, v42, -v64
	v_sub_f16_e32 v13, v36, v41
	v_add_f16_e32 v11, v11, v15
	v_add_f16_e32 v12, v34, v40
	v_sub_f16_e32 v21, v33, v39
	v_mul_f16_e32 v24, 0xb482, v13
	v_add_f16_e32 v11, v11, v17
	v_add_f16_e32 v20, v32, v38
	v_sub_f16_e32 v23, v30, v37
	v_mul_f16_e32 v25, 0x3853, v21
	v_fma_f16 v44, v12, s10, -v24
	v_fma_f16 v24, v12, s10, v24
	v_add_f16_e32 v11, v11, v29
	v_add_f16_e32 v22, v28, v35
	v_mul_f16_e32 v42, 0xba0c, v23
	v_fma_f16 v45, v20, s11, -v25
	v_fma_f16 v25, v20, s11, v25
	v_add_f16_e32 v44, v10, v44
	v_add_f16_e32 v24, v10, v24
	v_add_f16_e32 v11, v11, v35
	v_fma_f16 v46, v22, s12, -v42
	v_fma_f16 v42, v22, s12, v42
	v_add_f16_e32 v44, v45, v44
	v_add_f16_e32 v24, v25, v24
	;; [unrolled: 1-line block ×3, first 2 shown]
	v_sub_f16_e32 v45, v27, v31
	v_add_f16_e32 v25, v46, v44
	v_add_f16_e32 v24, v42, v24
	v_add_f16_e32 v44, v11, v40
	v_add_f16_e32 v42, v19, v29
	v_mul_f16_e32 v11, 0x3b47, v45
	v_fma_f16 v46, v42, s22, -v11
	v_fma_f16 v11, v42, s22, v11
	v_add_f16_e32 v24, v11, v24
	v_pk_mul_f16 v11, v13, s0 op_sel_hi:[0,1]
	v_pk_fma_f16 v48, v12, s13, v11 op_sel_hi:[0,1,1] neg_lo:[0,0,1] neg_hi:[0,0,1]
	v_pk_fma_f16 v11, v12, s13, v11 op_sel_hi:[0,1,1]
	v_pk_mul_f16 v50, v21, s18 op_sel_hi:[0,1]
	v_pk_add_f16 v11, v10, v11 op_sel_hi:[0,1]
	v_pk_fma_f16 v51, v20, s17, v50 op_sel_hi:[0,1,1] neg_lo:[0,0,1] neg_hi:[0,0,1]
	v_pk_fma_f16 v50, v20, s17, v50 op_sel_hi:[0,1,1]
	s_mov_b32 s0, 0xbbeb3482
	v_add_f16_sdwa v49, v10, v48 dst_sel:DWORD dst_unused:UNUSED_PAD src0_sel:DWORD src1_sel:WORD_1
	v_add_f16_e32 v48, v10, v48
	v_pk_add_f16 v11, v50, v11
	v_pk_mul_f16 v50, v23, s0 op_sel_hi:[0,1]
	v_add_f16_sdwa v49, v51, v49 dst_sel:DWORD dst_unused:UNUSED_PAD src0_sel:WORD_1 src1_sel:DWORD
	v_add_f16_e32 v48, v51, v48
	v_pk_fma_f16 v51, v22, s16, v50 op_sel_hi:[0,1,1] neg_lo:[0,0,1] neg_hi:[0,0,1]
	v_pk_fma_f16 v50, v22, s16, v50 op_sel_hi:[0,1,1]
	v_pk_add_f16 v11, v50, v11
	v_pk_mul_f16 v50, v45, s21 op_sel_hi:[0,1]
	v_sub_f16_e32 v47, v16, v18
	v_add_f16_sdwa v49, v51, v49 dst_sel:DWORD dst_unused:UNUSED_PAD src0_sel:WORD_1 src1_sel:DWORD
	v_add_f16_e32 v48, v51, v48
	v_pk_fma_f16 v51, v42, s19, v50 op_sel_hi:[0,1,1] neg_lo:[0,0,1] neg_hi:[0,0,1]
	v_pk_fma_f16 v50, v42, s19, v50 op_sel_hi:[0,1,1]
	s_mov_b32 s0, 0xb4823853
	v_add_f16_e32 v25, v46, v25
	v_add_f16_e32 v46, v15, v17
	v_pk_add_f16 v11, v50, v11
	v_pk_mul_f16 v50, v47, s0 op_sel_hi:[0,1]
	v_add_f16_sdwa v49, v51, v49 dst_sel:DWORD dst_unused:UNUSED_PAD src0_sel:WORD_1 src1_sel:DWORD
	v_add_f16_e32 v48, v51, v48
	v_pk_fma_f16 v51, v46, s20, v50 op_sel_hi:[0,1,1] neg_lo:[0,0,1] neg_hi:[0,0,1]
	v_pk_fma_f16 v50, v46, s20, v50 op_sel_hi:[0,1,1]
	s_mov_b32 s0, 0xb08eb93d
	v_pk_mul_f16 v13, v13, s1 op_sel_hi:[0,1]
	v_pk_add_f16 v11, v50, v11
	v_pk_fma_f16 v50, v12, s0, v13 op_sel_hi:[0,1,1] neg_lo:[0,0,1] neg_hi:[0,0,1]
	v_pk_fma_f16 v12, v12, s0, v13 op_sel_hi:[0,1,1]
	s_mov_b32 s1, 0x34823beb
	v_add_f16_sdwa v49, v51, v49 dst_sel:DWORD dst_unused:UNUSED_PAD src0_sel:WORD_1 src1_sel:DWORD
	v_add_f16_e32 v48, v51, v48
	v_add_f16_sdwa v51, v10, v50 dst_sel:DWORD dst_unused:UNUSED_PAD src0_sel:DWORD src1_sel:WORD_1
	v_add_f16_e32 v50, v10, v50
	v_pk_add_f16 v10, v10, v12 op_sel_hi:[0,1]
	s_mov_b32 s0, 0xbbadb08e
	v_pk_mul_f16 v12, v21, s1 op_sel_hi:[0,1]
	v_pk_fma_f16 v13, v20, s0, v12 op_sel_hi:[0,1,1] neg_lo:[0,0,1] neg_hi:[0,0,1]
	v_pk_fma_f16 v12, v20, s0, v12 op_sel_hi:[0,1,1]
	s_mov_b32 s1, 0x3b47b853
	v_pk_add_f16 v10, v12, v10
	s_mov_b32 s0, 0x36a63abb
	v_pk_mul_f16 v12, v23, s1 op_sel_hi:[0,1]
	v_pk_fma_f16 v20, v22, s0, v12 op_sel_hi:[0,1,1] neg_lo:[0,0,1] neg_hi:[0,0,1]
	v_pk_fma_f16 v12, v22, s0, v12 op_sel_hi:[0,1,1]
	s_mov_b32 s1, 0xb853b482
	v_add_f16_sdwa v21, v13, v51 dst_sel:DWORD dst_unused:UNUSED_PAD src0_sel:WORD_1 src1_sel:DWORD
	v_add_f16_e32 v13, v13, v50
	v_pk_add_f16 v10, v12, v10
	s_mov_b32 s0, 0x3abbbbad
	v_pk_mul_f16 v12, v45, s1 op_sel_hi:[0,1]
	v_add_f16_sdwa v21, v20, v21 dst_sel:DWORD dst_unused:UNUSED_PAD src0_sel:WORD_1 src1_sel:DWORD
	v_add_f16_e32 v13, v20, v13
	v_pk_fma_f16 v20, v42, s0, v12 op_sel_hi:[0,1,1] neg_lo:[0,0,1] neg_hi:[0,0,1]
	v_pk_fma_f16 v12, v42, s0, v12 op_sel_hi:[0,1,1]
	s_mov_b32 s1, 0xba0c3b47
	v_pk_add_f16 v10, v12, v10
	s_mov_b32 s0, 0xb93d36a6
	v_pk_mul_f16 v12, v47, s1 op_sel_hi:[0,1]
	v_add_f16_sdwa v21, v20, v21 dst_sel:DWORD dst_unused:UNUSED_PAD src0_sel:WORD_1 src1_sel:DWORD
	v_add_f16_e32 v13, v20, v13
	v_pk_fma_f16 v20, v46, s0, v12 op_sel_hi:[0,1,1] neg_lo:[0,0,1] neg_hi:[0,0,1]
	v_pk_fma_f16 v12, v46, s0, v12 op_sel_hi:[0,1,1]
	v_pk_add_f16 v10, v12, v10
	v_mul_f16_e32 v12, 0xbbeb, v47
	v_mov_b32_e32 v23, 1
	v_add_f16_sdwa v21, v20, v21 dst_sel:DWORD dst_unused:UNUSED_PAD src0_sel:WORD_1 src1_sel:DWORD
	v_add_f16_e32 v13, v20, v13
	v_fma_f16 v20, v46, s23, -v12
	v_mul_u32_u24_e32 v22, 0x1e4, v26
	v_lshlrev_b32_sdwa v23, v23, v43 dst_sel:DWORD dst_unused:UNUSED_PAD src0_sel:DWORD src1_sel:BYTE_0
	v_add_f16_e32 v20, v20, v25
	v_fma_f16 v12, v46, s23, v12
	v_add3_u32 v42, 0, v22, v23
	v_add_f16_e32 v12, v12, v24
	ds_write_b16 v42, v44
	ds_write_b16 v42, v49 offset:44
	ds_write_b16 v42, v48 offset:88
	;; [unrolled: 1-line block ×7, first 2 shown]
	ds_write_b16_d16_hi v42, v10 offset:352
	ds_write_b16 v42, v11 offset:396
	ds_write_b16_d16_hi v42, v11 offset:440
	s_waitcnt lgkmcnt(0)
	s_barrier
	ds_read_u16 v20, v9
	ds_read_u16 v24, v9 offset:484
	ds_read_u16 v21, v9 offset:968
	;; [unrolled: 1-line block ×6, first 2 shown]
	s_movk_i32 s0, 0x58
	v_cmp_gt_u32_e64 s[0:1], s0, v7
                                        ; implicit-def: $vgpr12
                                        ; implicit-def: $vgpr13
	s_and_saveexec_b64 s[6:7], s[0:1]
	s_cbranch_execz .LBB0_23
; %bb.22:
	ds_read_u16 v10, v6
	ds_read_u16 v11, v9 offset:792
	ds_read_u16 v43, v9 offset:1276
	;; [unrolled: 1-line block ×6, first 2 shown]
	s_mov_b32 s24, 0x5040100
	s_waitcnt lgkmcnt(5)
	v_perm_b32 v10, v11, v10, s24
	s_waitcnt lgkmcnt(3)
	v_perm_b32 v11, v44, v43, s24
.LBB0_23:
	s_or_b64 exec, exec, s[6:7]
	v_add_f16_e32 v43, v14, v36
	v_add_f16_e32 v43, v43, v33
	v_add_f16_e32 v43, v43, v30
	v_add_f16_e32 v43, v43, v27
	v_add_f16_e32 v43, v43, v16
	v_add_f16_e32 v43, v43, v18
	v_add_f16_e32 v43, v43, v31
	v_add_f16_e32 v43, v43, v37
	v_sub_f16_e32 v34, v34, v40
	v_add_f16_e32 v43, v43, v39
	v_add_f16_e32 v36, v36, v41
	v_mul_f16_e32 v40, 0xb482, v34
	v_sub_f16_e32 v32, v32, v38
	v_add_f16_e32 v43, v43, v41
	v_fma_f16 v41, v36, s10, v40
	v_add_f16_e32 v33, v33, v39
	v_mul_f16_e32 v38, 0x3853, v32
	v_sub_f16_e32 v28, v28, v35
	v_add_f16_e32 v41, v14, v41
	v_fma_f16 v39, v33, s11, v38
	v_add_f16_e32 v30, v30, v37
	v_mul_f16_e32 v35, 0xba0c, v28
	v_sub_f16_e32 v19, v19, v29
	v_fma_f16 v40, v36, s10, -v40
	v_add_f16_e32 v39, v39, v41
	v_fma_f16 v37, v30, s12, v35
	v_add_f16_e32 v27, v27, v31
	v_mul_f16_e32 v29, 0x3b47, v19
	s_mov_b32 s7, 0xbbebb853
	v_add_f16_e32 v40, v14, v40
	v_fma_f16 v38, v33, s11, -v38
	v_add_f16_e32 v37, v37, v39
	v_fma_f16 v31, v27, s22, v29
	v_sub_f16_e32 v17, v15, v17
	s_mov_b32 s6, 0xb08e3abb
	v_pk_mul_f16 v15, v34, s7 op_sel_hi:[0,1]
	s_mov_b32 s7, 0x3482bb47
	v_add_f16_e32 v38, v38, v40
	v_fma_f16 v35, v30, s12, -v35
	v_add_f16_e32 v31, v31, v37
	v_add_f16_e32 v16, v16, v18
	v_pk_fma_f16 v18, v36, s6, v15 op_sel_hi:[0,1,1]
	v_pk_fma_f16 v15, v36, s6, v15 op_sel_hi:[0,1,1] neg_lo:[0,0,1] neg_hi:[0,0,1]
	s_mov_b32 s6, 0xbbad36a6
	v_pk_mul_f16 v37, v32, s7 op_sel_hi:[0,1]
	v_add_f16_e32 v35, v35, v38
	v_fma_f16 v29, v27, s22, -v29
	v_pk_add_f16 v15, v14, v15 op_sel_hi:[0,1]
	v_pk_fma_f16 v38, v33, s6, v37 op_sel_hi:[0,1,1]
	v_pk_fma_f16 v37, v33, s6, v37 op_sel_hi:[0,1,1] neg_lo:[0,0,1] neg_hi:[0,0,1]
	s_mov_b32 s7, 0x3b47bbeb
	v_add_f16_e32 v29, v29, v35
	v_add_f16_e32 v35, v14, v18
	v_add_f16_sdwa v18, v14, v18 dst_sel:DWORD dst_unused:UNUSED_PAD src0_sel:DWORD src1_sel:WORD_1
	v_pk_add_f16 v15, v37, v15
	s_mov_b32 s6, 0x36a6b08e
	v_pk_mul_f16 v37, v28, s7 op_sel_hi:[0,1]
	v_add_f16_e32 v35, v38, v35
	v_add_f16_sdwa v18, v38, v18 dst_sel:DWORD dst_unused:UNUSED_PAD src0_sel:WORD_1 src1_sel:DWORD
	v_pk_fma_f16 v38, v30, s6, v37 op_sel_hi:[0,1,1]
	v_pk_fma_f16 v37, v30, s6, v37 op_sel_hi:[0,1,1] neg_lo:[0,0,1] neg_hi:[0,0,1]
	s_mov_b32 s7, 0xb853ba0c
	v_pk_add_f16 v15, v37, v15
	s_mov_b32 s6, 0x3abbb93d
	v_pk_mul_f16 v37, v19, s7 op_sel_hi:[0,1]
	v_add_f16_e32 v35, v38, v35
	v_add_f16_sdwa v18, v38, v18 dst_sel:DWORD dst_unused:UNUSED_PAD src0_sel:WORD_1 src1_sel:DWORD
	v_pk_fma_f16 v38, v27, s6, v37 op_sel_hi:[0,1,1]
	v_pk_fma_f16 v37, v27, s6, v37 op_sel_hi:[0,1,1] neg_lo:[0,0,1] neg_hi:[0,0,1]
	s_mov_b32 s7, 0xba0cb482
	v_pk_add_f16 v15, v37, v15
	s_mov_b32 s6, 0xb93dbbad
	v_pk_mul_f16 v37, v17, s7 op_sel_hi:[0,1]
	v_add_f16_e32 v35, v38, v35
	v_add_f16_sdwa v18, v38, v18 dst_sel:DWORD dst_unused:UNUSED_PAD src0_sel:WORD_1 src1_sel:DWORD
	v_pk_fma_f16 v38, v16, s6, v37 op_sel_hi:[0,1,1]
	v_pk_fma_f16 v37, v16, s6, v37 op_sel_hi:[0,1,1] neg_lo:[0,0,1] neg_hi:[0,0,1]
	v_pk_mul_f16 v34, v34, s18 op_sel_hi:[0,1]
	v_pk_add_f16 v15, v37, v15
	v_pk_fma_f16 v37, v36, s17, v34 op_sel_hi:[0,1,1]
	v_pk_fma_f16 v34, v36, s17, v34 op_sel_hi:[0,1,1] neg_lo:[0,0,1] neg_hi:[0,0,1]
	v_pk_mul_f16 v32, v32, s21 op_sel_hi:[0,1]
	s_mov_b32 s6, 0x3482b853
	v_add_f16_e32 v35, v38, v35
	v_add_f16_sdwa v18, v38, v18 dst_sel:DWORD dst_unused:UNUSED_PAD src0_sel:WORD_1 src1_sel:DWORD
	v_add_f16_sdwa v38, v14, v37 dst_sel:DWORD dst_unused:UNUSED_PAD src0_sel:DWORD src1_sel:WORD_1
	v_add_f16_e32 v37, v14, v37
	v_pk_add_f16 v14, v14, v34 op_sel_hi:[0,1]
	v_pk_fma_f16 v34, v33, s19, v32 op_sel_hi:[0,1,1]
	v_pk_fma_f16 v32, v33, s19, v32 op_sel_hi:[0,1,1] neg_lo:[0,0,1] neg_hi:[0,0,1]
	v_pk_mul_f16 v28, v28, s6 op_sel_hi:[0,1]
	s_mov_b32 s6, 0x3bebb482
	v_pk_add_f16 v14, v32, v14
	v_pk_fma_f16 v32, v30, s20, v28 op_sel_hi:[0,1,1]
	v_pk_fma_f16 v28, v30, s20, v28 op_sel_hi:[0,1,1] neg_lo:[0,0,1] neg_hi:[0,0,1]
	v_pk_mul_f16 v19, v19, s6 op_sel_hi:[0,1]
	v_pk_add_f16 v14, v28, v14
	v_pk_fma_f16 v28, v27, s16, v19 op_sel_hi:[0,1,1]
	v_pk_fma_f16 v19, v27, s16, v19 op_sel_hi:[0,1,1] neg_lo:[0,0,1] neg_hi:[0,0,1]
	s_mov_b32 s6, 0x38533b47
	v_pk_add_f16 v14, v19, v14
	v_pk_mul_f16 v19, v17, s6 op_sel_hi:[0,1]
	v_add_f16_sdwa v36, v34, v38 dst_sel:DWORD dst_unused:UNUSED_PAD src0_sel:WORD_1 src1_sel:DWORD
	v_add_f16_e32 v34, v34, v37
	v_pk_fma_f16 v27, v16, s13, v19 op_sel_hi:[0,1,1]
	v_pk_fma_f16 v19, v16, s13, v19 op_sel_hi:[0,1,1] neg_lo:[0,0,1] neg_hi:[0,0,1]
	v_mul_f16_e32 v17, 0xbbeb, v17
	v_add_f16_sdwa v33, v32, v36 dst_sel:DWORD dst_unused:UNUSED_PAD src0_sel:WORD_1 src1_sel:DWORD
	v_add_f16_e32 v32, v32, v34
	v_pk_add_f16 v14, v19, v14
	v_fma_f16 v19, v16, s23, v17
	v_fma_f16 v16, v16, s23, -v17
	v_add_f16_sdwa v30, v28, v33 dst_sel:DWORD dst_unused:UNUSED_PAD src0_sel:WORD_1 src1_sel:DWORD
	v_add_f16_e32 v28, v28, v32
	v_add_f16_e32 v16, v16, v29
	v_add_f16_sdwa v30, v27, v30 dst_sel:DWORD dst_unused:UNUSED_PAD src0_sel:WORD_1 src1_sel:DWORD
	v_add_f16_e32 v27, v27, v28
	v_add_f16_e32 v19, v19, v31
	s_waitcnt lgkmcnt(0)
	s_barrier
	ds_write_b16 v42, v43
	ds_write_b16 v42, v35 offset:44
	ds_write_b16 v42, v30 offset:88
	;; [unrolled: 1-line block ×7, first 2 shown]
	v_lshrrev_b32_e32 v16, 16, v15
	v_lshrrev_b32_e32 v17, 16, v14
	ds_write_b16 v42, v16 offset:352
	ds_write_b16 v42, v17 offset:396
	;; [unrolled: 1-line block ×3, first 2 shown]
	s_waitcnt lgkmcnt(0)
	s_barrier
	ds_read_u16 v27, v9
	ds_read_u16 v29, v9 offset:484
	ds_read_u16 v28, v9 offset:968
	;; [unrolled: 1-line block ×6, first 2 shown]
                                        ; implicit-def: $vgpr18
                                        ; implicit-def: $vgpr19
	s_and_saveexec_b64 s[6:7], s[0:1]
	s_cbranch_execz .LBB0_25
; %bb.24:
	ds_read_u16 v14, v6
	ds_read_u16 v16, v9 offset:792
	ds_read_u16 v17, v9 offset:1276
	;; [unrolled: 1-line block ×6, first 2 shown]
.LBB0_25:
	s_or_b64 exec, exec, s[6:7]
	s_and_saveexec_b64 s[6:7], vcc
	s_cbranch_execz .LBB0_28
; %bb.26:
	v_mul_u32_u24_e32 v6, 6, v7
	v_lshlrev_b32_e32 v6, 2, v6
	global_load_dwordx4 v[34:37], v6, s[8:9] offset:924
	global_load_dwordx2 v[38:39], v6, s[8:9] offset:940
	v_mul_lo_u32 v6, s5, v3
	v_mul_lo_u32 v9, s4, v4
	v_mad_u64_u32 v[3:4], s[4:5], s4, v3, 0
	s_movk_i32 s12, 0x3a52
	s_mov_b32 s6, 0xbcab
	v_add3_u32 v4, v4, v9, v6
	s_movk_i32 s5, 0x3574
	s_movk_i32 s4, 0x370e
	s_mov_b32 s10, 0xb574
	s_movk_i32 s13, 0x39e0
	s_movk_i32 s11, 0x3b00
	s_mov_b32 s16, 0x43b3d5b
	s_movk_i32 s18, 0xf2
	v_lshlrev_b64 v[3:4], 2, v[3:4]
	v_lshlrev_b64 v[1:2], 2, v[1:2]
	v_add_co_u32_e32 v3, vcc, s14, v3
	s_movk_i32 s7, 0x2b26
	s_waitcnt vmcnt(1) lgkmcnt(5)
	v_mul_f16_sdwa v6, v29, v34 dst_sel:DWORD dst_unused:UNUSED_PAD src0_sel:DWORD src1_sel:WORD_1
	s_waitcnt vmcnt(0) lgkmcnt(0)
	v_mul_f16_sdwa v9, v33, v39 dst_sel:DWORD dst_unused:UNUSED_PAD src0_sel:DWORD src1_sel:WORD_1
	v_mul_f16_sdwa v40, v31, v37 dst_sel:DWORD dst_unused:UNUSED_PAD src0_sel:DWORD src1_sel:WORD_1
	v_mul_f16_sdwa v41, v30, v36 dst_sel:DWORD dst_unused:UNUSED_PAD src0_sel:DWORD src1_sel:WORD_1
	v_mul_f16_sdwa v42, v28, v35 dst_sel:DWORD dst_unused:UNUSED_PAD src0_sel:DWORD src1_sel:WORD_1
	v_mul_f16_sdwa v43, v32, v38 dst_sel:DWORD dst_unused:UNUSED_PAD src0_sel:DWORD src1_sel:WORD_1
	v_mul_f16_sdwa v45, v24, v34 dst_sel:DWORD dst_unused:UNUSED_PAD src0_sel:DWORD src1_sel:WORD_1
	v_mul_f16_sdwa v46, v22, v36 dst_sel:DWORD dst_unused:UNUSED_PAD src0_sel:DWORD src1_sel:WORD_1
	v_mul_f16_sdwa v47, v25, v37 dst_sel:DWORD dst_unused:UNUSED_PAD src0_sel:DWORD src1_sel:WORD_1
	v_mul_f16_sdwa v48, v23, v38 dst_sel:DWORD dst_unused:UNUSED_PAD src0_sel:DWORD src1_sel:WORD_1
	v_mul_f16_sdwa v49, v21, v35 dst_sel:DWORD dst_unused:UNUSED_PAD src0_sel:DWORD src1_sel:WORD_1
	v_mul_f16_sdwa v44, v26, v39 dst_sel:DWORD dst_unused:UNUSED_PAD src0_sel:DWORD src1_sel:WORD_1
	v_fma_f16 v6, v24, v34, -v6
	v_fma_f16 v9, v26, v39, -v9
	;; [unrolled: 1-line block ×6, first 2 shown]
	v_fma_f16 v26, v29, v34, v45
	v_fma_f16 v29, v30, v36, v46
	;; [unrolled: 1-line block ×6, first 2 shown]
	v_sub_f16_e32 v32, v6, v9
	v_sub_f16_e32 v34, v21, v23
	v_add_f16_e32 v36, v30, v29
	v_add_f16_e32 v37, v28, v31
	;; [unrolled: 1-line block ×5, first 2 shown]
	v_sub_f16_e32 v33, v24, v22
	v_add_f16_e32 v35, v26, v25
	v_sub_f16_e32 v23, v30, v29
	v_sub_f16_e32 v30, v36, v37
	;; [unrolled: 1-line block ×3, first 2 shown]
	v_add_f16_e32 v39, v6, v21
	v_sub_f16_e32 v22, v26, v25
	v_sub_f16_e32 v24, v28, v31
	;; [unrolled: 1-line block ×4, first 2 shown]
	v_add_f16_e32 v28, v33, v34
	v_sub_f16_e32 v29, v35, v36
	v_add_f16_e32 v31, v35, v37
	v_sub_f16_e32 v33, v6, v9
	v_mul_f16_e32 v30, 0x2b26, v30
	v_mul_f16_e32 v38, 0x2b26, v38
	v_add_f16_e32 v9, v9, v39
	v_sub_f16_e32 v41, v23, v24
	v_sub_f16_e32 v34, v34, v32
	v_add_f16_e32 v28, v32, v28
	v_mul_f16_e32 v32, 0x3a52, v29
	v_add_f16_e32 v31, v36, v31
	v_mul_f16_e32 v36, 0x3a52, v33
	v_fma_f16 v29, v29, s12, v30
	v_fma_f16 v33, v33, s12, v38
	v_add_f16_e32 v43, v20, v9
	s_mov_b32 s12, 0xb9e0
	v_sub_f16_e32 v6, v21, v6
	v_sub_f16_e32 v40, v22, v23
	v_add_f16_e32 v23, v23, v24
	v_mul_f16_e32 v26, 0xb846, v26
	v_mul_f16_e32 v39, 0xb846, v41
	v_fma_f16 v9, v9, s6, v43
	v_fma_f16 v21, v6, s12, -v36
	v_add_f16_e32 v23, v22, v23
	v_mul_f16_e32 v41, 0x3b00, v34
	v_fma_f16 v42, v25, s5, v26
	v_fma_f16 v20, v40, s5, v39
	v_add_f16_e32 v36, v21, v9
	v_sub_f16_e32 v21, v24, v22
	v_add_f16_e32 v27, v27, v31
	v_fma_f16 v25, v25, s10, -v41
	v_fma_f16 v41, v28, s4, v42
	v_fma_f16 v42, v23, s4, v20
	v_sub_f16_e32 v20, v37, v35
	v_mul_f16_e32 v22, 0x3b00, v21
	v_fma_f16 v31, v31, s6, v27
	v_fma_f16 v32, v20, s12, -v32
	v_fma_f16 v22, v40, s10, -v22
	;; [unrolled: 1-line block ×3, first 2 shown]
	v_fma_f16 v24, v23, s4, v22
	v_add_f16_e32 v22, v20, v31
	v_fma_f16 v20, v34, s11, -v26
	v_fma_f16 v26, v28, s4, v20
	v_lshrrev_b32_e32 v20, 1, v7
	v_mul_hi_u32 v20, v20, s16
	v_fma_f16 v21, v21, s11, -v39
	v_fma_f16 v23, v23, s4, v21
	v_fma_f16 v6, v6, s13, -v38
	v_lshrrev_b32_e32 v20, 1, v20
	v_mul_lo_u32 v20, v20, s18
	v_add_f16_e32 v6, v6, v9
	v_add_f16_e32 v29, v29, v31
	;; [unrolled: 1-line block ×3, first 2 shown]
	v_sub_u32_e32 v30, v7, v20
	v_mad_u64_u32 v[20:21], s[16:17], s2, v30, 0
	v_add_f16_e32 v32, v32, v31
	v_add_f16_e32 v9, v23, v6
	v_sub_f16_e32 v31, v6, v23
	v_mov_b32_e32 v6, v21
	v_fma_f16 v25, v28, s4, v25
	v_sub_f16_e32 v28, v22, v26
	v_add_f16_e32 v26, v26, v22
	v_mad_u64_u32 v[21:22], s[16:17], s3, v30, v[6:7]
	v_mov_b32_e32 v6, s15
	v_addc_co_u32_e32 v4, vcc, v6, v4, vcc
	v_add_co_u32_e32 v1, vcc, v3, v1
	v_add_u32_e32 v22, 0xf2, v30
	v_addc_co_u32_e32 v2, vcc, v4, v2, vcc
	v_lshlrev_b64 v[3:4], 2, v[20:21]
	v_mad_u64_u32 v[20:21], s[14:15], s2, v22, 0
	v_sub_f16_e32 v45, v33, v42
	v_add_f16_e32 v35, v25, v32
	v_mov_b32_e32 v6, v21
	v_sub_f16_e32 v25, v32, v25
	v_add_f16_e32 v32, v42, v33
	v_mad_u64_u32 v[21:22], s[14:15], s3, v22, v[6:7]
	v_add_u32_e32 v33, 0x1e4, v30
	v_mad_u64_u32 v[22:23], s[14:15], s2, v33, 0
	v_add_co_u32_e32 v3, vcc, v1, v3
	v_addc_co_u32_e32 v4, vcc, v2, v4, vcc
	v_pack_b32_f16 v27, v43, v27
	v_mov_b32_e32 v6, v23
	global_store_dword v[3:4], v27, off
	v_lshlrev_b64 v[3:4], 2, v[20:21]
	v_mad_u64_u32 v[20:21], s[14:15], s3, v33, v[6:7]
	v_add_f16_e32 v44, v41, v29
	v_sub_f16_e32 v29, v29, v41
	v_add_co_u32_e32 v3, vcc, v1, v3
	v_addc_co_u32_e32 v4, vcc, v2, v4, vcc
	v_pack_b32_f16 v6, v32, v29
	v_mov_b32_e32 v23, v20
	global_store_dword v[3:4], v6, off
	v_lshlrev_b64 v[3:4], 2, v[22:23]
	v_add_u32_e32 v22, 0x2d6, v30
	v_mad_u64_u32 v[20:21], s[14:15], s2, v22, 0
	v_sub_f16_e32 v37, v36, v24
	v_add_f16_e32 v24, v24, v36
	v_mov_b32_e32 v6, v21
	v_pack_b32_f16 v24, v24, v25
	v_mad_u64_u32 v[21:22], s[14:15], s3, v22, v[6:7]
	v_add_u32_e32 v25, 0x3c8, v30
	v_mad_u64_u32 v[22:23], s[14:15], s2, v25, 0
	v_add_co_u32_e32 v3, vcc, v1, v3
	v_addc_co_u32_e32 v4, vcc, v2, v4, vcc
	v_mov_b32_e32 v6, v23
	global_store_dword v[3:4], v24, off
	v_lshlrev_b64 v[3:4], 2, v[20:21]
	v_mad_u64_u32 v[20:21], s[14:15], s3, v25, v[6:7]
	v_add_co_u32_e32 v3, vcc, v1, v3
	v_addc_co_u32_e32 v4, vcc, v2, v4, vcc
	v_pack_b32_f16 v6, v31, v26
	v_mov_b32_e32 v23, v20
	global_store_dword v[3:4], v6, off
	v_lshlrev_b64 v[3:4], 2, v[22:23]
	v_add_u32_e32 v22, 0x4ba, v30
	v_mad_u64_u32 v[20:21], s[14:15], s2, v22, 0
	v_add_u32_e32 v24, 0x5ac, v30
	v_add_co_u32_e32 v3, vcc, v1, v3
	v_mov_b32_e32 v6, v21
	v_mad_u64_u32 v[21:22], s[14:15], s3, v22, v[6:7]
	v_mad_u64_u32 v[22:23], s[14:15], s2, v24, 0
	v_addc_co_u32_e32 v4, vcc, v2, v4, vcc
	v_pack_b32_f16 v9, v9, v28
	v_mov_b32_e32 v6, v23
	global_store_dword v[3:4], v9, off
	v_lshlrev_b64 v[3:4], 2, v[20:21]
	v_mad_u64_u32 v[20:21], s[14:15], s3, v24, v[6:7]
	v_add_co_u32_e32 v3, vcc, v1, v3
	v_addc_co_u32_e32 v4, vcc, v2, v4, vcc
	v_pack_b32_f16 v6, v37, v35
	v_mov_b32_e32 v23, v20
	global_store_dword v[3:4], v6, off
	v_lshlrev_b64 v[3:4], 2, v[22:23]
	v_pack_b32_f16 v6, v45, v44
	v_add_co_u32_e32 v3, vcc, v1, v3
	v_addc_co_u32_e32 v4, vcc, v2, v4, vcc
	global_store_dword v[3:4], v6, off
	v_add_u32_e32 v3, 0x9a, v7
	v_cmp_gt_u32_e32 vcc, s18, v3
	s_and_b64 exec, exec, vcc
	s_cbranch_execz .LBB0_28
; %bb.27:
	v_add_u32_e32 v4, 0xffffffa8, v7
	v_cndmask_b32_e64 v4, v4, v8, s[0:1]
	v_mul_i32_i24_e32 v8, 6, v4
	v_mov_b32_e32 v9, 0
	v_lshlrev_b64 v[8:9], 2, v[8:9]
	v_mov_b32_e32 v4, s9
	v_add_co_u32_e32 v8, vcc, s8, v8
	v_addc_co_u32_e32 v9, vcc, v4, v9, vcc
	global_load_dwordx4 v[20:23], v[8:9], off offset:924
	global_load_dwordx2 v[24:25], v[8:9], off offset:940
	v_lshrrev_b32_e32 v4, 16, v10
	v_lshrrev_b32_e32 v6, 16, v11
	s_waitcnt vmcnt(1)
	v_mul_f16_sdwa v8, v16, v20 dst_sel:DWORD dst_unused:UNUSED_PAD src0_sel:DWORD src1_sel:WORD_1
	v_mul_f16_sdwa v9, v4, v20 dst_sel:DWORD dst_unused:UNUSED_PAD src0_sel:DWORD src1_sel:WORD_1
	;; [unrolled: 1-line block ×3, first 2 shown]
	s_waitcnt vmcnt(0)
	v_mul_f16_sdwa v32, v19, v24 dst_sel:DWORD dst_unused:UNUSED_PAD src0_sel:DWORD src1_sel:WORD_1
	v_mul_f16_sdwa v34, v18, v25 dst_sel:DWORD dst_unused:UNUSED_PAD src0_sel:DWORD src1_sel:WORD_1
	;; [unrolled: 1-line block ×9, first 2 shown]
	v_fma_f16 v4, v4, v20, -v8
	v_fma_f16 v8, v16, v20, v9
	v_fma_f16 v9, v11, v21, -v26
	v_fma_f16 v13, v13, v24, -v32
	;; [unrolled: 1-line block ×3, first 2 shown]
	v_fma_f16 v11, v17, v21, v27
	v_fma_f16 v6, v6, v22, -v28
	v_fma_f16 v15, v15, v22, v29
	v_fma_f16 v0, v0, v23, -v30
	v_fma_f16 v5, v5, v23, v31
	v_fma_f16 v16, v19, v24, v33
	v_fma_f16 v17, v18, v25, v35
	v_add_f16_e32 v18, v4, v12
	v_sub_f16_e32 v4, v4, v12
	v_add_f16_e32 v12, v9, v13
	v_add_f16_e32 v19, v8, v17
	v_sub_f16_e32 v8, v8, v17
	v_add_f16_e32 v17, v11, v16
	v_sub_f16_e32 v9, v9, v13
	v_sub_f16_e32 v11, v11, v16
	v_add_f16_e32 v13, v6, v0
	v_add_f16_e32 v16, v15, v5
	v_sub_f16_e32 v0, v0, v6
	v_sub_f16_e32 v5, v5, v15
	v_add_f16_e32 v6, v12, v18
	v_add_f16_e32 v15, v17, v19
	v_sub_f16_e32 v20, v12, v18
	v_sub_f16_e32 v21, v17, v19
	;; [unrolled: 1-line block ×6, first 2 shown]
	v_add_f16_e32 v22, v0, v9
	v_add_f16_e32 v23, v5, v11
	v_sub_f16_e32 v24, v0, v9
	v_sub_f16_e32 v25, v5, v11
	;; [unrolled: 1-line block ×4, first 2 shown]
	v_add_f16_e32 v6, v13, v6
	v_sub_f16_e32 v0, v4, v0
	v_sub_f16_e32 v5, v8, v5
	v_add_f16_e32 v13, v16, v15
	v_add_f16_e32 v4, v22, v4
	;; [unrolled: 1-line block ×3, first 2 shown]
	v_mul_f16_e32 v15, 0x3a52, v18
	v_mul_f16_e32 v16, 0x3a52, v19
	;; [unrolled: 1-line block ×8, first 2 shown]
	v_add_f16_e32 v10, v10, v6
	v_fma_f16 v12, v12, s7, v15
	v_fma_f16 v17, v17, s7, v16
	v_fma_f16 v18, v20, s13, -v18
	v_fma_f16 v19, v21, s13, -v19
	;; [unrolled: 1-line block ×4, first 2 shown]
	v_fma_f16 v20, v0, s5, v22
	v_fma_f16 v21, v5, s5, v23
	v_fma_f16 v9, v9, s11, -v22
	v_fma_f16 v0, v0, s10, -v24
	v_fma_f16 v6, v6, s6, v10
	v_fma_f16 v5, v5, s10, -v25
	v_add_f16_e32 v12, v12, v6
	v_add_f16_e32 v18, v18, v6
	;; [unrolled: 1-line block ×3, first 2 shown]
	v_fma_f16 v15, v4, s4, v20
	v_fma_f16 v9, v4, s4, v9
	;; [unrolled: 1-line block ×4, first 2 shown]
	v_mad_u64_u32 v[4:5], s[0:1], s2, v3, 0
	v_add_f16_e32 v14, v14, v13
	v_fma_f16 v11, v11, s11, -v23
	v_fma_f16 v13, v13, s6, v14
	v_add_f16_e32 v19, v19, v13
	v_fma_f16 v11, v8, s4, v11
	v_add_f16_e32 v23, v0, v6
	v_sub_f16_e32 v25, v18, v11
	v_add_f16_e32 v26, v9, v19
	v_add_f16_e32 v11, v11, v18
	v_sub_f16_e32 v18, v19, v9
	v_sub_f16_e32 v19, v6, v0
	v_mov_b32_e32 v0, v5
	v_mad_u64_u32 v[5:6], s[0:1], s3, v3, v[0:1]
	v_add_f16_e32 v17, v17, v13
	v_add_f16_e32 v13, v16, v13
	v_fma_f16 v16, v8, s4, v21
	v_add_u32_e32 v8, 0x18c, v7
	v_lshlrev_b64 v[3:4], 2, v[4:5]
	v_mad_u64_u32 v[5:6], s[0:1], s2, v8, 0
	v_add_f16_e32 v21, v16, v12
	v_sub_f16_e32 v12, v12, v16
	v_mov_b32_e32 v0, v6
	v_mad_u64_u32 v[8:9], s[0:1], s3, v8, v[0:1]
	v_add_u32_e32 v16, 0x27e, v7
	v_pack_b32_f16 v14, v10, v14
	v_mad_u64_u32 v[9:10], s[0:1], s2, v16, 0
	v_add_co_u32_e32 v3, vcc, v1, v3
	v_addc_co_u32_e32 v4, vcc, v2, v4, vcc
	v_mov_b32_e32 v6, v8
	v_mov_b32_e32 v0, v10
	global_store_dword v[3:4], v14, off
	v_lshlrev_b64 v[3:4], 2, v[5:6]
	v_mad_u64_u32 v[5:6], s[0:1], s3, v16, v[0:1]
	v_add_u32_e32 v8, 0x370, v7
	v_sub_f16_e32 v22, v17, v15
	v_mov_b32_e32 v10, v5
	v_mad_u64_u32 v[5:6], s[0:1], s2, v8, 0
	v_add_co_u32_e32 v3, vcc, v1, v3
	v_addc_co_u32_e32 v4, vcc, v2, v4, vcc
	v_pack_b32_f16 v0, v21, v22
	global_store_dword v[3:4], v0, off
	v_mov_b32_e32 v0, v6
	v_lshlrev_b64 v[3:4], 2, v[9:10]
	v_mad_u64_u32 v[8:9], s[0:1], s3, v8, v[0:1]
	v_add_u32_e32 v16, 0x462, v7
	v_mad_u64_u32 v[9:10], s[0:1], s2, v16, 0
	v_sub_f16_e32 v24, v13, v20
	v_add_co_u32_e32 v3, vcc, v1, v3
	v_addc_co_u32_e32 v4, vcc, v2, v4, vcc
	v_pack_b32_f16 v14, v23, v24
	v_mov_b32_e32 v6, v8
	v_mov_b32_e32 v0, v10
	global_store_dword v[3:4], v14, off
	v_lshlrev_b64 v[3:4], 2, v[5:6]
	v_mad_u64_u32 v[5:6], s[0:1], s3, v16, v[0:1]
	v_add_u32_e32 v8, 0x554, v7
	v_add_co_u32_e32 v3, vcc, v1, v3
	v_mov_b32_e32 v10, v5
	v_mad_u64_u32 v[5:6], s[0:1], s2, v8, 0
	v_addc_co_u32_e32 v4, vcc, v2, v4, vcc
	v_pack_b32_f16 v0, v25, v26
	global_store_dword v[3:4], v0, off
	v_mov_b32_e32 v0, v6
	v_lshlrev_b64 v[3:4], 2, v[9:10]
	v_mad_u64_u32 v[8:9], s[0:1], s3, v8, v[0:1]
	v_add_u32_e32 v7, 0x646, v7
	v_mad_u64_u32 v[9:10], s[0:1], s2, v7, 0
	v_add_co_u32_e32 v3, vcc, v1, v3
	v_addc_co_u32_e32 v4, vcc, v2, v4, vcc
	v_pack_b32_f16 v11, v11, v18
	v_mov_b32_e32 v6, v8
	v_mov_b32_e32 v0, v10
	global_store_dword v[3:4], v11, off
	v_lshlrev_b64 v[3:4], 2, v[5:6]
	v_mad_u64_u32 v[5:6], s[0:1], s3, v7, v[0:1]
	v_add_f16_e32 v13, v20, v13
	v_add_co_u32_e32 v3, vcc, v1, v3
	v_addc_co_u32_e32 v4, vcc, v2, v4, vcc
	v_pack_b32_f16 v0, v19, v13
	v_mov_b32_e32 v10, v5
	global_store_dword v[3:4], v0, off
	v_lshlrev_b64 v[3:4], 2, v[9:10]
	v_add_f16_e32 v15, v15, v17
	v_add_co_u32_e32 v0, vcc, v1, v3
	v_addc_co_u32_e32 v1, vcc, v2, v4, vcc
	v_pack_b32_f16 v2, v12, v15
	global_store_dword v[0:1], v2, off
.LBB0_28:
	s_endpgm
	.section	.rodata,"a",@progbits
	.p2align	6, 0x0
	.amdhsa_kernel fft_rtc_fwd_len1694_factors_11_2_11_7_wgs_154_tpt_154_halfLds_half_op_CI_CI_sbrr_dirReg
		.amdhsa_group_segment_fixed_size 0
		.amdhsa_private_segment_fixed_size 0
		.amdhsa_kernarg_size 104
		.amdhsa_user_sgpr_count 6
		.amdhsa_user_sgpr_private_segment_buffer 1
		.amdhsa_user_sgpr_dispatch_ptr 0
		.amdhsa_user_sgpr_queue_ptr 0
		.amdhsa_user_sgpr_kernarg_segment_ptr 1
		.amdhsa_user_sgpr_dispatch_id 0
		.amdhsa_user_sgpr_flat_scratch_init 0
		.amdhsa_user_sgpr_private_segment_size 0
		.amdhsa_uses_dynamic_stack 0
		.amdhsa_system_sgpr_private_segment_wavefront_offset 0
		.amdhsa_system_sgpr_workgroup_id_x 1
		.amdhsa_system_sgpr_workgroup_id_y 0
		.amdhsa_system_sgpr_workgroup_id_z 0
		.amdhsa_system_sgpr_workgroup_info 0
		.amdhsa_system_vgpr_workitem_id 0
		.amdhsa_next_free_vgpr 66
		.amdhsa_next_free_sgpr 44
		.amdhsa_reserve_vcc 1
		.amdhsa_reserve_flat_scratch 0
		.amdhsa_float_round_mode_32 0
		.amdhsa_float_round_mode_16_64 0
		.amdhsa_float_denorm_mode_32 3
		.amdhsa_float_denorm_mode_16_64 3
		.amdhsa_dx10_clamp 1
		.amdhsa_ieee_mode 1
		.amdhsa_fp16_overflow 0
		.amdhsa_exception_fp_ieee_invalid_op 0
		.amdhsa_exception_fp_denorm_src 0
		.amdhsa_exception_fp_ieee_div_zero 0
		.amdhsa_exception_fp_ieee_overflow 0
		.amdhsa_exception_fp_ieee_underflow 0
		.amdhsa_exception_fp_ieee_inexact 0
		.amdhsa_exception_int_div_zero 0
	.end_amdhsa_kernel
	.text
.Lfunc_end0:
	.size	fft_rtc_fwd_len1694_factors_11_2_11_7_wgs_154_tpt_154_halfLds_half_op_CI_CI_sbrr_dirReg, .Lfunc_end0-fft_rtc_fwd_len1694_factors_11_2_11_7_wgs_154_tpt_154_halfLds_half_op_CI_CI_sbrr_dirReg
                                        ; -- End function
	.section	.AMDGPU.csdata,"",@progbits
; Kernel info:
; codeLenInByte = 10684
; NumSgprs: 48
; NumVgprs: 66
; ScratchSize: 0
; MemoryBound: 0
; FloatMode: 240
; IeeeMode: 1
; LDSByteSize: 0 bytes/workgroup (compile time only)
; SGPRBlocks: 5
; VGPRBlocks: 16
; NumSGPRsForWavesPerEU: 48
; NumVGPRsForWavesPerEU: 66
; Occupancy: 3
; WaveLimiterHint : 1
; COMPUTE_PGM_RSRC2:SCRATCH_EN: 0
; COMPUTE_PGM_RSRC2:USER_SGPR: 6
; COMPUTE_PGM_RSRC2:TRAP_HANDLER: 0
; COMPUTE_PGM_RSRC2:TGID_X_EN: 1
; COMPUTE_PGM_RSRC2:TGID_Y_EN: 0
; COMPUTE_PGM_RSRC2:TGID_Z_EN: 0
; COMPUTE_PGM_RSRC2:TIDIG_COMP_CNT: 0
	.type	__hip_cuid_c6f7c090bad9d090,@object ; @__hip_cuid_c6f7c090bad9d090
	.section	.bss,"aw",@nobits
	.globl	__hip_cuid_c6f7c090bad9d090
__hip_cuid_c6f7c090bad9d090:
	.byte	0                               ; 0x0
	.size	__hip_cuid_c6f7c090bad9d090, 1

	.ident	"AMD clang version 19.0.0git (https://github.com/RadeonOpenCompute/llvm-project roc-6.4.0 25133 c7fe45cf4b819c5991fe208aaa96edf142730f1d)"
	.section	".note.GNU-stack","",@progbits
	.addrsig
	.addrsig_sym __hip_cuid_c6f7c090bad9d090
	.amdgpu_metadata
---
amdhsa.kernels:
  - .args:
      - .actual_access:  read_only
        .address_space:  global
        .offset:         0
        .size:           8
        .value_kind:     global_buffer
      - .offset:         8
        .size:           8
        .value_kind:     by_value
      - .actual_access:  read_only
        .address_space:  global
        .offset:         16
        .size:           8
        .value_kind:     global_buffer
      - .actual_access:  read_only
        .address_space:  global
        .offset:         24
        .size:           8
        .value_kind:     global_buffer
      - .actual_access:  read_only
        .address_space:  global
        .offset:         32
        .size:           8
        .value_kind:     global_buffer
      - .offset:         40
        .size:           8
        .value_kind:     by_value
      - .actual_access:  read_only
        .address_space:  global
        .offset:         48
        .size:           8
        .value_kind:     global_buffer
      - .actual_access:  read_only
        .address_space:  global
        .offset:         56
        .size:           8
        .value_kind:     global_buffer
      - .offset:         64
        .size:           4
        .value_kind:     by_value
      - .actual_access:  read_only
        .address_space:  global
        .offset:         72
        .size:           8
        .value_kind:     global_buffer
      - .actual_access:  read_only
        .address_space:  global
        .offset:         80
        .size:           8
        .value_kind:     global_buffer
      - .actual_access:  read_only
        .address_space:  global
        .offset:         88
        .size:           8
        .value_kind:     global_buffer
      - .actual_access:  write_only
        .address_space:  global
        .offset:         96
        .size:           8
        .value_kind:     global_buffer
    .group_segment_fixed_size: 0
    .kernarg_segment_align: 8
    .kernarg_segment_size: 104
    .language:       OpenCL C
    .language_version:
      - 2
      - 0
    .max_flat_workgroup_size: 154
    .name:           fft_rtc_fwd_len1694_factors_11_2_11_7_wgs_154_tpt_154_halfLds_half_op_CI_CI_sbrr_dirReg
    .private_segment_fixed_size: 0
    .sgpr_count:     48
    .sgpr_spill_count: 0
    .symbol:         fft_rtc_fwd_len1694_factors_11_2_11_7_wgs_154_tpt_154_halfLds_half_op_CI_CI_sbrr_dirReg.kd
    .uniform_work_group_size: 1
    .uses_dynamic_stack: false
    .vgpr_count:     66
    .vgpr_spill_count: 0
    .wavefront_size: 64
amdhsa.target:   amdgcn-amd-amdhsa--gfx906
amdhsa.version:
  - 1
  - 2
...

	.end_amdgpu_metadata
